;; amdgpu-corpus repo=ROCm/rocFFT kind=compiled arch=gfx1201 opt=O3
	.text
	.amdgcn_target "amdgcn-amd-amdhsa--gfx1201"
	.amdhsa_code_object_version 6
	.protected	fft_rtc_back_len325_factors_13_5_5_wgs_52_tpt_13_sp_op_CI_CI_sbrr_dirReg ; -- Begin function fft_rtc_back_len325_factors_13_5_5_wgs_52_tpt_13_sp_op_CI_CI_sbrr_dirReg
	.globl	fft_rtc_back_len325_factors_13_5_5_wgs_52_tpt_13_sp_op_CI_CI_sbrr_dirReg
	.p2align	8
	.type	fft_rtc_back_len325_factors_13_5_5_wgs_52_tpt_13_sp_op_CI_CI_sbrr_dirReg,@function
fft_rtc_back_len325_factors_13_5_5_wgs_52_tpt_13_sp_op_CI_CI_sbrr_dirReg: ; @fft_rtc_back_len325_factors_13_5_5_wgs_52_tpt_13_sp_op_CI_CI_sbrr_dirReg
; %bb.0:
	s_clause 0x2
	s_load_b128 s[12:15], s[0:1], 0x18
	s_load_b128 s[8:11], s[0:1], 0x0
	;; [unrolled: 1-line block ×3, first 2 shown]
	v_mul_u32_u24_e32 v1, 0x13b2, v0
	v_mov_b32_e32 v3, 0
	s_wait_kmcnt 0x0
	s_load_b64 s[18:19], s[12:13], 0x0
	s_load_b64 s[16:17], s[14:15], 0x0
	v_lshrrev_b32_e32 v7, 16, v1
	v_cmp_lt_u64_e64 s2, s[10:11], 2
	v_mov_b32_e32 v1, 0
	v_mov_b32_e32 v2, 0
	;; [unrolled: 1-line block ×3, first 2 shown]
	v_lshl_add_u32 v5, ttmp9, 2, v7
	s_and_b32 vcc_lo, exec_lo, s2
	s_cbranch_vccnz .LBB0_8
; %bb.1:
	s_load_b64 s[2:3], s[0:1], 0x10
	v_mov_b32_e32 v1, 0
	v_mov_b32_e32 v2, 0
	s_add_nc_u64 s[20:21], s[14:15], 8
	s_add_nc_u64 s[22:23], s[12:13], 8
	s_mov_b64 s[24:25], 1
	s_delay_alu instid0(VALU_DEP_1)
	v_dual_mov_b32 v49, v2 :: v_dual_mov_b32 v48, v1
	s_wait_kmcnt 0x0
	s_add_nc_u64 s[26:27], s[2:3], 8
	s_mov_b32 s3, 0
.LBB0_2:                                ; =>This Inner Loop Header: Depth=1
	s_load_b64 s[28:29], s[26:27], 0x0
                                        ; implicit-def: $vgpr50_vgpr51
	s_mov_b32 s2, exec_lo
	s_wait_kmcnt 0x0
	v_or_b32_e32 v4, s29, v6
	s_delay_alu instid0(VALU_DEP_1)
	v_cmpx_ne_u64_e32 0, v[3:4]
	s_wait_alu 0xfffe
	s_xor_b32 s30, exec_lo, s2
	s_cbranch_execz .LBB0_4
; %bb.3:                                ;   in Loop: Header=BB0_2 Depth=1
	s_cvt_f32_u32 s2, s28
	s_cvt_f32_u32 s31, s29
	s_sub_nc_u64 s[36:37], 0, s[28:29]
	s_wait_alu 0xfffe
	s_delay_alu instid0(SALU_CYCLE_1) | instskip(SKIP_1) | instid1(SALU_CYCLE_2)
	s_fmamk_f32 s2, s31, 0x4f800000, s2
	s_wait_alu 0xfffe
	v_s_rcp_f32 s2, s2
	s_delay_alu instid0(TRANS32_DEP_1) | instskip(SKIP_1) | instid1(SALU_CYCLE_2)
	s_mul_f32 s2, s2, 0x5f7ffffc
	s_wait_alu 0xfffe
	s_mul_f32 s31, s2, 0x2f800000
	s_wait_alu 0xfffe
	s_delay_alu instid0(SALU_CYCLE_2) | instskip(SKIP_1) | instid1(SALU_CYCLE_2)
	s_trunc_f32 s31, s31
	s_wait_alu 0xfffe
	s_fmamk_f32 s2, s31, 0xcf800000, s2
	s_cvt_u32_f32 s35, s31
	s_wait_alu 0xfffe
	s_delay_alu instid0(SALU_CYCLE_1) | instskip(SKIP_1) | instid1(SALU_CYCLE_2)
	s_cvt_u32_f32 s34, s2
	s_wait_alu 0xfffe
	s_mul_u64 s[38:39], s[36:37], s[34:35]
	s_wait_alu 0xfffe
	s_mul_hi_u32 s41, s34, s39
	s_mul_i32 s40, s34, s39
	s_mul_hi_u32 s2, s34, s38
	s_mul_i32 s33, s35, s38
	s_wait_alu 0xfffe
	s_add_nc_u64 s[40:41], s[2:3], s[40:41]
	s_mul_hi_u32 s31, s35, s38
	s_mul_hi_u32 s42, s35, s39
	s_add_co_u32 s2, s40, s33
	s_wait_alu 0xfffe
	s_add_co_ci_u32 s2, s41, s31
	s_mul_i32 s38, s35, s39
	s_add_co_ci_u32 s39, s42, 0
	s_wait_alu 0xfffe
	s_add_nc_u64 s[38:39], s[2:3], s[38:39]
	s_wait_alu 0xfffe
	v_add_co_u32 v4, s2, s34, s38
	s_delay_alu instid0(VALU_DEP_1) | instskip(SKIP_1) | instid1(VALU_DEP_1)
	s_cmp_lg_u32 s2, 0
	s_add_co_ci_u32 s35, s35, s39
	v_readfirstlane_b32 s34, v4
	s_wait_alu 0xfffe
	s_delay_alu instid0(VALU_DEP_1)
	s_mul_u64 s[36:37], s[36:37], s[34:35]
	s_wait_alu 0xfffe
	s_mul_hi_u32 s39, s34, s37
	s_mul_i32 s38, s34, s37
	s_mul_hi_u32 s2, s34, s36
	s_mul_i32 s33, s35, s36
	s_wait_alu 0xfffe
	s_add_nc_u64 s[38:39], s[2:3], s[38:39]
	s_mul_hi_u32 s31, s35, s36
	s_mul_hi_u32 s34, s35, s37
	s_wait_alu 0xfffe
	s_add_co_u32 s2, s38, s33
	s_add_co_ci_u32 s2, s39, s31
	s_mul_i32 s36, s35, s37
	s_add_co_ci_u32 s37, s34, 0
	s_wait_alu 0xfffe
	s_add_nc_u64 s[36:37], s[2:3], s[36:37]
	s_wait_alu 0xfffe
	v_add_co_u32 v4, s2, v4, s36
	s_delay_alu instid0(VALU_DEP_1) | instskip(SKIP_1) | instid1(VALU_DEP_1)
	s_cmp_lg_u32 s2, 0
	s_add_co_ci_u32 s2, s35, s37
	v_mul_hi_u32 v14, v5, v4
	s_wait_alu 0xfffe
	v_mad_co_u64_u32 v[8:9], null, v5, s2, 0
	v_mad_co_u64_u32 v[10:11], null, v6, v4, 0
	;; [unrolled: 1-line block ×3, first 2 shown]
	s_delay_alu instid0(VALU_DEP_3) | instskip(SKIP_1) | instid1(VALU_DEP_4)
	v_add_co_u32 v4, vcc_lo, v14, v8
	s_wait_alu 0xfffd
	v_add_co_ci_u32_e32 v8, vcc_lo, 0, v9, vcc_lo
	s_delay_alu instid0(VALU_DEP_2) | instskip(SKIP_1) | instid1(VALU_DEP_2)
	v_add_co_u32 v4, vcc_lo, v4, v10
	s_wait_alu 0xfffd
	v_add_co_ci_u32_e32 v4, vcc_lo, v8, v11, vcc_lo
	s_wait_alu 0xfffd
	v_add_co_ci_u32_e32 v8, vcc_lo, 0, v13, vcc_lo
	s_delay_alu instid0(VALU_DEP_2) | instskip(SKIP_1) | instid1(VALU_DEP_2)
	v_add_co_u32 v4, vcc_lo, v4, v12
	s_wait_alu 0xfffd
	v_add_co_ci_u32_e32 v10, vcc_lo, 0, v8, vcc_lo
	s_delay_alu instid0(VALU_DEP_2) | instskip(SKIP_1) | instid1(VALU_DEP_3)
	v_mul_lo_u32 v11, s29, v4
	v_mad_co_u64_u32 v[8:9], null, s28, v4, 0
	v_mul_lo_u32 v12, s28, v10
	s_delay_alu instid0(VALU_DEP_2) | instskip(NEXT) | instid1(VALU_DEP_2)
	v_sub_co_u32 v8, vcc_lo, v5, v8
	v_add3_u32 v9, v9, v12, v11
	s_delay_alu instid0(VALU_DEP_1) | instskip(SKIP_1) | instid1(VALU_DEP_1)
	v_sub_nc_u32_e32 v11, v6, v9
	s_wait_alu 0xfffd
	v_subrev_co_ci_u32_e64 v11, s2, s29, v11, vcc_lo
	v_add_co_u32 v12, s2, v4, 2
	s_wait_alu 0xf1ff
	v_add_co_ci_u32_e64 v13, s2, 0, v10, s2
	v_sub_co_u32 v14, s2, v8, s28
	v_sub_co_ci_u32_e32 v9, vcc_lo, v6, v9, vcc_lo
	s_wait_alu 0xf1ff
	v_subrev_co_ci_u32_e64 v11, s2, 0, v11, s2
	s_delay_alu instid0(VALU_DEP_3) | instskip(NEXT) | instid1(VALU_DEP_3)
	v_cmp_le_u32_e32 vcc_lo, s28, v14
	v_cmp_eq_u32_e64 s2, s29, v9
	s_wait_alu 0xfffd
	v_cndmask_b32_e64 v14, 0, -1, vcc_lo
	v_cmp_le_u32_e32 vcc_lo, s29, v11
	s_wait_alu 0xfffd
	v_cndmask_b32_e64 v15, 0, -1, vcc_lo
	v_cmp_le_u32_e32 vcc_lo, s28, v8
	;; [unrolled: 3-line block ×3, first 2 shown]
	s_wait_alu 0xfffd
	v_cndmask_b32_e64 v16, 0, -1, vcc_lo
	v_cmp_eq_u32_e32 vcc_lo, s29, v11
	s_wait_alu 0xf1ff
	s_delay_alu instid0(VALU_DEP_2)
	v_cndmask_b32_e64 v8, v16, v8, s2
	s_wait_alu 0xfffd
	v_cndmask_b32_e32 v11, v15, v14, vcc_lo
	v_add_co_u32 v14, vcc_lo, v4, 1
	s_wait_alu 0xfffd
	v_add_co_ci_u32_e32 v15, vcc_lo, 0, v10, vcc_lo
	s_delay_alu instid0(VALU_DEP_3) | instskip(SKIP_2) | instid1(VALU_DEP_3)
	v_cmp_ne_u32_e32 vcc_lo, 0, v11
	s_wait_alu 0xfffd
	v_cndmask_b32_e32 v11, v14, v12, vcc_lo
	v_cndmask_b32_e32 v9, v15, v13, vcc_lo
	v_cmp_ne_u32_e32 vcc_lo, 0, v8
	s_wait_alu 0xfffd
	s_delay_alu instid0(VALU_DEP_2)
	v_dual_cndmask_b32 v50, v4, v11 :: v_dual_cndmask_b32 v51, v10, v9
.LBB0_4:                                ;   in Loop: Header=BB0_2 Depth=1
	s_wait_alu 0xfffe
	s_and_not1_saveexec_b32 s2, s30
	s_cbranch_execz .LBB0_6
; %bb.5:                                ;   in Loop: Header=BB0_2 Depth=1
	v_cvt_f32_u32_e32 v4, s28
	s_sub_co_i32 s30, 0, s28
	v_mov_b32_e32 v51, v3
	s_delay_alu instid0(VALU_DEP_2) | instskip(NEXT) | instid1(TRANS32_DEP_1)
	v_rcp_iflag_f32_e32 v4, v4
	v_mul_f32_e32 v4, 0x4f7ffffe, v4
	s_delay_alu instid0(VALU_DEP_1) | instskip(SKIP_1) | instid1(VALU_DEP_1)
	v_cvt_u32_f32_e32 v4, v4
	s_wait_alu 0xfffe
	v_mul_lo_u32 v8, s30, v4
	s_delay_alu instid0(VALU_DEP_1) | instskip(NEXT) | instid1(VALU_DEP_1)
	v_mul_hi_u32 v8, v4, v8
	v_add_nc_u32_e32 v4, v4, v8
	s_delay_alu instid0(VALU_DEP_1) | instskip(NEXT) | instid1(VALU_DEP_1)
	v_mul_hi_u32 v4, v5, v4
	v_mul_lo_u32 v8, v4, s28
	s_delay_alu instid0(VALU_DEP_1) | instskip(NEXT) | instid1(VALU_DEP_1)
	v_sub_nc_u32_e32 v8, v5, v8
	v_subrev_nc_u32_e32 v10, s28, v8
	v_cmp_le_u32_e32 vcc_lo, s28, v8
	s_wait_alu 0xfffd
	s_delay_alu instid0(VALU_DEP_2) | instskip(NEXT) | instid1(VALU_DEP_1)
	v_dual_cndmask_b32 v8, v8, v10 :: v_dual_add_nc_u32 v9, 1, v4
	v_cndmask_b32_e32 v4, v4, v9, vcc_lo
	s_delay_alu instid0(VALU_DEP_2) | instskip(NEXT) | instid1(VALU_DEP_2)
	v_cmp_le_u32_e32 vcc_lo, s28, v8
	v_add_nc_u32_e32 v9, 1, v4
	s_wait_alu 0xfffd
	s_delay_alu instid0(VALU_DEP_1)
	v_cndmask_b32_e32 v50, v4, v9, vcc_lo
.LBB0_6:                                ;   in Loop: Header=BB0_2 Depth=1
	s_wait_alu 0xfffe
	s_or_b32 exec_lo, exec_lo, s2
	v_mul_lo_u32 v4, v51, s28
	s_delay_alu instid0(VALU_DEP_2)
	v_mul_lo_u32 v10, v50, s29
	s_load_b64 s[30:31], s[22:23], 0x0
	v_mad_co_u64_u32 v[8:9], null, v50, s28, 0
	s_load_b64 s[28:29], s[20:21], 0x0
	s_add_nc_u64 s[24:25], s[24:25], 1
	s_add_nc_u64 s[20:21], s[20:21], 8
	s_wait_alu 0xfffe
	v_cmp_ge_u64_e64 s2, s[24:25], s[10:11]
	s_add_nc_u64 s[22:23], s[22:23], 8
	s_add_nc_u64 s[26:27], s[26:27], 8
	v_add3_u32 v4, v9, v10, v4
	v_sub_co_u32 v5, vcc_lo, v5, v8
	s_wait_alu 0xfffd
	s_delay_alu instid0(VALU_DEP_2) | instskip(SKIP_2) | instid1(VALU_DEP_1)
	v_sub_co_ci_u32_e32 v4, vcc_lo, v6, v4, vcc_lo
	s_and_b32 vcc_lo, exec_lo, s2
	s_wait_kmcnt 0x0
	v_mul_lo_u32 v6, s30, v4
	v_mul_lo_u32 v8, s31, v5
	v_mad_co_u64_u32 v[1:2], null, s30, v5, v[1:2]
	v_mul_lo_u32 v4, s28, v4
	v_mul_lo_u32 v9, s29, v5
	v_mad_co_u64_u32 v[48:49], null, s28, v5, v[48:49]
	s_delay_alu instid0(VALU_DEP_4) | instskip(NEXT) | instid1(VALU_DEP_2)
	v_add3_u32 v2, v8, v2, v6
	v_add3_u32 v49, v9, v49, v4
	s_wait_alu 0xfffe
	s_cbranch_vccnz .LBB0_9
; %bb.7:                                ;   in Loop: Header=BB0_2 Depth=1
	v_dual_mov_b32 v5, v50 :: v_dual_mov_b32 v6, v51
	s_branch .LBB0_2
.LBB0_8:
	v_dual_mov_b32 v49, v2 :: v_dual_mov_b32 v48, v1
	s_delay_alu instid0(VALU_DEP_2)
	v_dual_mov_b32 v51, v6 :: v_dual_mov_b32 v50, v5
.LBB0_9:
	s_load_b64 s[0:1], s[0:1], 0x28
	v_mul_hi_u32 v3, 0x13b13b14, v0
	v_and_b32_e32 v4, 3, v7
	s_lshl_b64 s[10:11], s[10:11], 3
                                        ; implicit-def: $vgpr54
                                        ; implicit-def: $vgpr58
	s_wait_kmcnt 0x0
	v_cmp_gt_u64_e32 vcc_lo, s[0:1], v[50:51]
	v_cmp_le_u64_e64 s0, s[0:1], v[50:51]
	s_delay_alu instid0(VALU_DEP_1)
	s_and_saveexec_b32 s1, s0
	s_wait_alu 0xfffe
	s_xor_b32 s0, exec_lo, s1
; %bb.10:
	v_mul_u32_u24_e32 v1, 13, v3
                                        ; implicit-def: $vgpr3
	s_delay_alu instid0(VALU_DEP_1) | instskip(NEXT) | instid1(VALU_DEP_1)
	v_sub_nc_u32_e32 v54, v0, v1
                                        ; implicit-def: $vgpr0
                                        ; implicit-def: $vgpr1_vgpr2
	v_add_nc_u32_e32 v58, 13, v54
; %bb.11:
	s_wait_alu 0xfffe
	s_or_saveexec_b32 s1, s0
	v_mul_u32_u24_e32 v4, 0x145, v4
	s_add_nc_u64 s[2:3], s[14:15], s[10:11]
	s_delay_alu instid0(VALU_DEP_1)
	v_lshlrev_b32_e32 v59, 3, v4
	s_wait_alu 0xfffe
	s_xor_b32 exec_lo, exec_lo, s1
	s_cbranch_execz .LBB0_13
; %bb.12:
	v_mul_u32_u24_e32 v3, 13, v3
	s_add_nc_u64 s[10:11], s[12:13], s[10:11]
	s_load_b64 s[10:11], s[10:11], 0x0
	s_delay_alu instid0(VALU_DEP_1) | instskip(SKIP_1) | instid1(VALU_DEP_2)
	v_sub_nc_u32_e32 v54, v0, v3
	v_lshlrev_b64_e32 v[0:1], 3, v[1:2]
	v_add_nc_u32_e32 v58, 13, v54
	v_mad_co_u64_u32 v[2:3], null, s18, v54, 0
	v_add_nc_u32_e32 v19, 52, v54
	v_add_nc_u32_e32 v21, 0x68, v54
	s_delay_alu instid0(VALU_DEP_4)
	v_mad_co_u64_u32 v[4:5], null, s18, v58, 0
	v_add_nc_u32_e32 v23, 0x75, v54
	v_add_nc_u32_e32 v35, 0xc3, v54
	;; [unrolled: 1-line block ×3, first 2 shown]
	v_or_b32_e32 v37, 0xd0, v54
	v_add_nc_u32_e32 v39, 0xdd, v54
	v_add_nc_u32_e32 v52, 0x111, v54
	v_mad_co_u64_u32 v[12:13], null, s19, v54, v[3:4]
	v_mad_co_u64_u32 v[13:14], null, s18, v19, 0
	v_add_nc_u32_e32 v17, 26, v54
	s_wait_kmcnt 0x0
	v_mul_lo_u32 v15, s11, v50
	v_mul_lo_u32 v16, s10, v51
	v_mad_co_u64_u32 v[10:11], null, s10, v50, 0
	v_mad_co_u64_u32 v[6:7], null, s18, v17, 0
	v_dual_mov_b32 v3, v5 :: v_dual_add_nc_u32 v18, 39, v54
	v_add_nc_u32_e32 v20, 0x5b, v54
	v_mad_co_u64_u32 v[32:33], null, s18, v35, 0
	v_add3_u32 v11, v11, v16, v15
	v_mov_b32_e32 v5, v7
	v_mad_co_u64_u32 v[8:9], null, s18, v18, 0
	v_mad_co_u64_u32 v[15:16], null, s19, v58, v[3:4]
	v_mov_b32_e32 v3, v12
	s_delay_alu instid0(VALU_DEP_4) | instskip(NEXT) | instid1(VALU_DEP_4)
	v_mad_co_u64_u32 v[16:17], null, s19, v17, v[5:6]
	v_dual_mov_b32 v7, v9 :: v_dual_add_nc_u32 v30, 0x9c, v54
	v_lshlrev_b64_e32 v[9:10], 3, v[10:11]
	v_mov_b32_e32 v5, v15
	v_lshlrev_b64_e32 v[2:3], 3, v[2:3]
	v_add_nc_u32_e32 v60, 0x12b, v54
	v_mad_co_u64_u32 v[11:12], null, s19, v18, v[7:8]
	v_add_co_u32 v9, s0, s4, v9
	s_wait_alu 0xf1ff
	v_add_co_ci_u32_e64 v10, s0, s5, v10, s0
	v_mad_co_u64_u32 v[17:18], null, s18, v20, 0
	v_mov_b32_e32 v7, v16
	v_add_co_u32 v63, s0, v9, v0
	v_mov_b32_e32 v9, v11
	s_wait_alu 0xf1ff
	v_add_co_ci_u32_e64 v64, s0, v10, v1, s0
	v_lshlrev_b64_e32 v[0:1], 3, v[4:5]
	v_lshlrev_b64_e32 v[4:5], 3, v[6:7]
	;; [unrolled: 1-line block ×3, first 2 shown]
	v_mov_b32_e32 v6, v14
	v_add_nc_u32_e32 v12, 0x41, v54
	v_add_co_u32 v2, s0, v63, v2
	s_wait_alu 0xf1ff
	v_add_co_ci_u32_e64 v3, s0, v64, v3, s0
	v_mad_co_u64_u32 v[9:10], null, s19, v19, v[6:7]
	v_add_co_u32 v0, s0, v63, v0
	v_mad_co_u64_u32 v[10:11], null, s18, v12, 0
	s_wait_alu 0xf1ff
	v_add_co_ci_u32_e64 v1, s0, v64, v1, s0
	v_add_co_u32 v4, s0, v63, v4
	v_add_nc_u32_e32 v19, 0x4e, v54
	s_wait_alu 0xf1ff
	v_add_co_ci_u32_e64 v5, s0, v64, v5, s0
	v_add_co_u32 v6, s0, v63, v7
	s_wait_alu 0xf1ff
	v_add_co_ci_u32_e64 v7, s0, v64, v8, s0
	v_mov_b32_e32 v8, v11
	v_mad_co_u64_u32 v[15:16], null, s18, v19, 0
	v_mov_b32_e32 v14, v9
	v_add_nc_u32_e32 v24, 0x82, v54
	s_delay_alu instid0(VALU_DEP_4)
	v_mad_co_u64_u32 v[8:9], null, s19, v12, v[8:9]
	s_clause 0x3
	global_load_b64 v[2:3], v[2:3], off
	global_load_b64 v[0:1], v[0:1], off
	;; [unrolled: 1-line block ×4, first 2 shown]
	v_lshlrev_b64_e32 v[12:13], 3, v[13:14]
	v_dual_mov_b32 v9, v16 :: v_dual_mov_b32 v14, v18
	v_add_nc_u32_e32 v31, 0xa9, v54
	v_add_nc_u32_e32 v45, 0x104, v54
	v_mov_b32_e32 v11, v8
	s_delay_alu instid0(VALU_DEP_4) | instskip(SKIP_1) | instid1(VALU_DEP_3)
	v_mad_co_u64_u32 v[8:9], null, s19, v19, v[9:10]
	v_mad_co_u64_u32 v[18:19], null, s19, v20, v[14:15]
	v_lshlrev_b64_e32 v[9:10], 3, v[10:11]
	v_add_co_u32 v12, s0, v63, v12
	v_mad_co_u64_u32 v[19:20], null, s18, v21, 0
	v_mov_b32_e32 v16, v8
	s_wait_alu 0xf1ff
	v_add_co_ci_u32_e64 v13, s0, v64, v13, s0
	v_add_co_u32 v8, s0, v63, v9
	s_wait_alu 0xf1ff
	v_add_co_ci_u32_e64 v9, s0, v64, v10, s0
	v_lshlrev_b64_e32 v[10:11], 3, v[15:16]
	v_lshlrev_b64_e32 v[14:15], 3, v[17:18]
	v_mad_co_u64_u32 v[17:18], null, s18, v23, 0
	v_mov_b32_e32 v16, v20
	v_mad_co_u64_u32 v[28:29], null, s18, v31, 0
	v_add_nc_u32_e32 v26, 0x8f, v54
	v_add_co_u32 v10, s0, v63, v10
	s_delay_alu instid0(VALU_DEP_4)
	v_mad_co_u64_u32 v[20:21], null, s19, v21, v[16:17]
	v_mad_co_u64_u32 v[21:22], null, s18, v24, 0
	v_mov_b32_e32 v16, v18
	s_wait_alu 0xf1ff
	v_add_co_ci_u32_e64 v11, s0, v64, v11, s0
	v_add_co_u32 v14, s0, v63, v14
	s_wait_alu 0xf1ff
	v_add_co_ci_u32_e64 v15, s0, v64, v15, s0
	v_mov_b32_e32 v18, v22
	v_mad_co_u64_u32 v[22:23], null, s19, v23, v[16:17]
	s_clause 0x3
	global_load_b64 v[12:13], v[12:13], off
	global_load_b64 v[8:9], v[8:9], off
	;; [unrolled: 1-line block ×4, first 2 shown]
	v_add_nc_u32_e32 v55, 0x11e, v54
	v_mad_co_u64_u32 v[23:24], null, s19, v24, v[18:19]
	v_lshlrev_b64_e32 v[19:20], 3, v[19:20]
	v_mov_b32_e32 v18, v22
	s_delay_alu instid0(VALU_DEP_3) | instskip(SKIP_1) | instid1(VALU_DEP_4)
	v_dual_mov_b32 v22, v23 :: v_dual_mov_b32 v23, v29
	v_mad_co_u64_u32 v[24:25], null, s18, v26, 0
	v_add_co_u32 v19, s0, v63, v19
	s_delay_alu instid0(VALU_DEP_4) | instskip(NEXT) | instid1(VALU_DEP_4)
	v_lshlrev_b64_e32 v[16:17], 3, v[17:18]
	v_lshlrev_b64_e32 v[21:22], 3, v[21:22]
	s_wait_alu 0xf1ff
	v_add_co_ci_u32_e64 v20, s0, v64, v20, s0
	v_mov_b32_e32 v18, v25
	s_delay_alu instid0(VALU_DEP_4) | instskip(SKIP_2) | instid1(VALU_DEP_3)
	v_add_co_u32 v16, s0, v63, v16
	s_wait_alu 0xf1ff
	v_add_co_ci_u32_e64 v17, s0, v64, v17, s0
	v_mad_co_u64_u32 v[25:26], null, s19, v26, v[18:19]
	v_mad_co_u64_u32 v[26:27], null, s18, v30, 0
	v_add_co_u32 v21, s0, v63, v21
	s_wait_alu 0xf1ff
	v_add_co_ci_u32_e64 v22, s0, v64, v22, s0
	s_delay_alu instid0(VALU_DEP_4) | instskip(NEXT) | instid1(VALU_DEP_4)
	v_lshlrev_b64_e32 v[24:25], 3, v[24:25]
	v_mov_b32_e32 v18, v27
	s_delay_alu instid0(VALU_DEP_1) | instskip(NEXT) | instid1(VALU_DEP_3)
	v_mad_co_u64_u32 v[29:30], null, s19, v30, v[18:19]
	v_mad_co_u64_u32 v[30:31], null, s19, v31, v[23:24]
	v_add_co_u32 v23, s0, v63, v24
	s_wait_alu 0xf1ff
	v_add_co_ci_u32_e64 v24, s0, v64, v25, s0
	s_delay_alu instid0(VALU_DEP_4)
	v_mov_b32_e32 v27, v29
	s_clause 0x3
	global_load_b64 v[18:19], v[19:20], off
	global_load_b64 v[16:17], v[16:17], off
	;; [unrolled: 1-line block ×4, first 2 shown]
	v_mov_b32_e32 v29, v30
	v_mad_co_u64_u32 v[30:31], null, s18, v34, 0
	v_lshlrev_b64_e32 v[24:25], 3, v[26:27]
	s_delay_alu instid0(VALU_DEP_3) | instskip(NEXT) | instid1(VALU_DEP_3)
	v_lshlrev_b64_e32 v[27:28], 3, v[28:29]
	v_dual_mov_b32 v29, v33 :: v_dual_mov_b32 v26, v31
	s_delay_alu instid0(VALU_DEP_3) | instskip(SKIP_1) | instid1(VALU_DEP_4)
	v_add_co_u32 v24, s0, v63, v24
	s_wait_alu 0xf1ff
	v_add_co_ci_u32_e64 v25, s0, v64, v25, s0
	s_delay_alu instid0(VALU_DEP_3) | instskip(SKIP_3) | instid1(VALU_DEP_4)
	v_mad_co_u64_u32 v[33:34], null, s19, v34, v[26:27]
	v_mad_co_u64_u32 v[34:35], null, s19, v35, v[29:30]
	v_mad_co_u64_u32 v[35:36], null, s18, v37, 0
	v_add_co_u32 v26, s0, v63, v27
	v_mov_b32_e32 v31, v33
	s_wait_alu 0xf1ff
	v_add_co_ci_u32_e64 v27, s0, v64, v28, s0
	s_delay_alu instid0(VALU_DEP_4) | instskip(NEXT) | instid1(VALU_DEP_3)
	v_dual_mov_b32 v33, v34 :: v_dual_mov_b32 v28, v36
	v_lshlrev_b64_e32 v[29:30], 3, v[30:31]
	s_delay_alu instid0(VALU_DEP_2) | instskip(NEXT) | instid1(VALU_DEP_2)
	v_lshlrev_b64_e32 v[31:32], 3, v[32:33]
	v_mad_co_u64_u32 v[33:34], null, s19, v37, v[28:29]
	v_mad_co_u64_u32 v[37:38], null, s18, v39, 0
	v_add_nc_u32_e32 v41, 0xea, v54
	v_add_co_u32 v28, s0, v63, v29
	s_wait_alu 0xf1ff
	v_add_co_ci_u32_e64 v29, s0, v64, v30, s0
	v_mov_b32_e32 v36, v33
	v_mad_co_u64_u32 v[33:34], null, s18, v41, 0
	v_add_co_u32 v30, s0, v63, v31
	s_wait_alu 0xf1ff
	v_add_co_ci_u32_e64 v31, s0, v64, v32, s0
	v_dual_mov_b32 v32, v38 :: v_dual_add_nc_u32 v43, 0xf7, v54
	v_lshlrev_b64_e32 v[35:36], 3, v[35:36]
	s_clause 0x3
	global_load_b64 v[24:25], v[24:25], off
	global_load_b64 v[26:27], v[26:27], off
	;; [unrolled: 1-line block ×4, first 2 shown]
	v_mad_co_u64_u32 v[38:39], null, s19, v39, v[32:33]
	v_mov_b32_e32 v32, v34
	v_mad_co_u64_u32 v[39:40], null, s18, v43, 0
	v_add_co_u32 v35, s0, v63, v35
	s_delay_alu instid0(VALU_DEP_3) | instskip(SKIP_4) | instid1(VALU_DEP_4)
	v_mad_co_u64_u32 v[41:42], null, s19, v41, v[32:33]
	v_lshlrev_b64_e32 v[37:38], 3, v[37:38]
	s_wait_alu 0xf1ff
	v_add_co_ci_u32_e64 v36, s0, v64, v36, s0
	v_mov_b32_e32 v32, v40
	v_mov_b32_e32 v34, v41
	s_delay_alu instid0(VALU_DEP_4) | instskip(NEXT) | instid1(VALU_DEP_3)
	v_add_co_u32 v37, s0, v63, v37
	v_mad_co_u64_u32 v[40:41], null, s19, v43, v[32:33]
	v_mad_co_u64_u32 v[41:42], null, s18, v45, 0
	s_delay_alu instid0(VALU_DEP_4)
	v_lshlrev_b64_e32 v[32:33], 3, v[33:34]
	v_mad_co_u64_u32 v[43:44], null, s18, v52, 0
	s_wait_alu 0xf1ff
	v_add_co_ci_u32_e64 v38, s0, v64, v38, s0
	v_lshlrev_b64_e32 v[39:40], 3, v[39:40]
	v_mov_b32_e32 v34, v42
	v_add_co_u32 v32, s0, v63, v32
	s_wait_alu 0xf1ff
	v_add_co_ci_u32_e64 v33, s0, v64, v33, s0
	s_delay_alu instid0(VALU_DEP_3)
	v_mad_co_u64_u32 v[45:46], null, s19, v45, v[34:35]
	v_mad_co_u64_u32 v[46:47], null, s18, v55, 0
	v_mov_b32_e32 v34, v44
	v_add_co_u32 v39, s0, v63, v39
	s_wait_alu 0xf1ff
	v_add_co_ci_u32_e64 v40, s0, v64, v40, s0
	v_mov_b32_e32 v42, v45
	v_mad_co_u64_u32 v[44:45], null, s19, v52, v[34:35]
	v_dual_mov_b32 v34, v47 :: v_dual_add_nc_u32 v45, 0x138, v54
	v_mad_co_u64_u32 v[52:53], null, s18, v60, 0
	s_delay_alu instid0(VALU_DEP_4) | instskip(NEXT) | instid1(VALU_DEP_3)
	v_lshlrev_b64_e32 v[41:42], 3, v[41:42]
	v_mad_co_u64_u32 v[55:56], null, s19, v55, v[34:35]
	s_delay_alu instid0(VALU_DEP_4)
	v_mad_co_u64_u32 v[56:57], null, s18, v45, 0
	s_clause 0x3
	global_load_b64 v[34:35], v[35:36], off
	global_load_b64 v[36:37], v[37:38], off
	;; [unrolled: 1-line block ×4, first 2 shown]
	v_mov_b32_e32 v40, v53
	v_lshlrev_b64_e32 v[43:44], 3, v[43:44]
	v_mov_b32_e32 v47, v55
	s_delay_alu instid0(VALU_DEP_3)
	v_mad_co_u64_u32 v[60:61], null, s19, v60, v[40:41]
	v_mov_b32_e32 v40, v57
	v_add_co_u32 v41, s0, v63, v41
	s_wait_alu 0xf1ff
	v_add_co_ci_u32_e64 v42, s0, v64, v42, s0
	v_add_co_u32 v43, s0, v63, v43
	s_delay_alu instid0(VALU_DEP_3) | instskip(SKIP_4) | instid1(VALU_DEP_3)
	v_mad_co_u64_u32 v[61:62], null, s19, v45, v[40:41]
	v_mov_b32_e32 v53, v60
	v_lshlrev_b64_e32 v[45:46], 3, v[46:47]
	s_wait_alu 0xf1ff
	v_add_co_ci_u32_e64 v44, s0, v64, v44, s0
	v_lshlrev_b64_e32 v[52:53], 3, v[52:53]
	v_mov_b32_e32 v57, v61
	s_delay_alu instid0(VALU_DEP_4) | instskip(SKIP_2) | instid1(VALU_DEP_3)
	v_add_co_u32 v45, s0, v63, v45
	s_wait_alu 0xf1ff
	v_add_co_ci_u32_e64 v46, s0, v64, v46, s0
	v_lshlrev_b64_e32 v[55:56], 3, v[56:57]
	v_add_co_u32 v52, s0, v63, v52
	s_wait_alu 0xf1ff
	v_add_co_ci_u32_e64 v53, s0, v64, v53, s0
	s_delay_alu instid0(VALU_DEP_3)
	v_add_co_u32 v55, s0, v63, v55
	s_wait_alu 0xf1ff
	v_add_co_ci_u32_e64 v56, s0, v64, v56, s0
	s_clause 0x4
	global_load_b64 v[40:41], v[41:42], off
	global_load_b64 v[42:43], v[43:44], off
	;; [unrolled: 1-line block ×5, first 2 shown]
	v_lshlrev_b32_e32 v55, 3, v54
	s_delay_alu instid0(VALU_DEP_1) | instskip(NEXT) | instid1(VALU_DEP_1)
	v_add3_u32 v55, 0, v59, v55
	v_add_nc_u32_e32 v56, 0x800, v55
	s_wait_loadcnt 0x17
	ds_store_2addr_b64 v55, v[2:3], v[0:1] offset1:13
	s_wait_loadcnt 0x15
	ds_store_2addr_b64 v55, v[4:5], v[6:7] offset0:26 offset1:39
	s_wait_loadcnt 0x13
	ds_store_2addr_b64 v55, v[12:13], v[8:9] offset0:52 offset1:65
	;; [unrolled: 2-line block ×11, first 2 shown]
	s_wait_loadcnt 0x0
	ds_store_b64 v55, v[52:53] offset:2496
.LBB0_13:
	s_or_b32 exec_lo, exec_lo, s1
	v_lshlrev_b32_e32 v0, 3, v54
	v_add_nc_u32_e32 v55, 0, v59
	s_load_b64 s[2:3], s[2:3], 0x0
	global_wb scope:SCOPE_SE
	s_wait_dscnt 0x0
	s_wait_kmcnt 0x0
	s_barrier_signal -1
	v_add_nc_u32_e32 v1, 0, v0
	v_add_nc_u32_e32 v60, v55, v0
	s_barrier_wait -1
	global_inv scope:SCOPE_SE
	s_mov_b32 s1, exec_lo
	v_add_nc_u32_e32 v56, v1, v59
	ds_load_2addr_b64 v[0:3], v56 offset0:13 offset1:25
	ds_load_b64 v[61:62], v60
	s_wait_dscnt 0x0
	v_dual_add_f32 v64, v62, v3 :: v_dual_add_nc_u32 v57, 0x800, v56
	v_add_f32_e32 v63, v61, v2
	ds_load_2addr_b64 v[44:47], v56 offset0:38 offset1:50
	ds_load_2addr_b64 v[4:7], v57 offset0:32 offset1:44
	;; [unrolled: 1-line block ×8, first 2 shown]
	ds_load_b64 v[52:53], v56 offset:2504
	s_wait_dscnt 0x8
	v_dual_add_f32 v64, v64, v47 :: v_dual_add_f32 v63, v63, v46
	s_wait_dscnt 0x7
	v_dual_add_f32 v65, v6, v2 :: v_dual_sub_f32 v66, v3, v7
	v_dual_add_f32 v67, v7, v3 :: v_dual_sub_f32 v68, v2, v6
	s_wait_dscnt 0x6
	v_dual_add_f32 v2, v63, v42 :: v_dual_add_f32 v3, v64, v43
	ds_load_2addr_b64 v[16:19], v56 offset0:213 offset1:225
	ds_load_2addr_b64 v[12:15], v56 offset0:238 offset1:250
	;; [unrolled: 1-line block ×3, first 2 shown]
	v_mul_f32_e32 v64, 0x3f62ad3f, v67
	v_mul_f32_e32 v70, 0x3f116cb1, v67
	s_wait_dscnt 0x8
	v_dual_add_f32 v2, v2, v38 :: v_dual_add_f32 v3, v3, v39
	v_mul_f32_e32 v63, 0xbeedf032, v66
	v_fmamk_f32 v78, v68, 0x3eedf032, v64
	v_mul_f32_e32 v72, 0x3df6dbef, v67
	s_wait_dscnt 0x7
	v_dual_fmac_f32 v64, 0xbeedf032, v68 :: v_dual_add_f32 v3, v3, v35
	v_fmamk_f32 v80, v68, 0x3f52af12, v70
	v_fmamk_f32 v77, v65, 0x3f62ad3f, v63
	v_fma_f32 v63, 0x3f62ad3f, v65, -v63
	v_dual_mul_f32 v69, 0xbf52af12, v66 :: v_dual_fmac_f32 v70, 0xbf52af12, v68
	s_wait_dscnt 0x6
	v_dual_add_f32 v3, v3, v31 :: v_dual_add_f32 v2, v2, v34
	s_delay_alu instid0(VALU_DEP_3)
	v_add_f32_e32 v63, v61, v63
	v_mul_f32_e32 v71, 0xbf7e222b, v66
	v_fmamk_f32 v79, v65, 0x3f116cb1, v69
	s_wait_dscnt 0x5
	v_dual_add_f32 v3, v3, v27 :: v_dual_add_f32 v2, v2, v30
	v_fmamk_f32 v82, v68, 0x3f7e222b, v72
	v_fma_f32 v69, 0x3f116cb1, v65, -v69
	s_wait_dscnt 0x4
	s_delay_alu instid0(VALU_DEP_3) | instskip(SKIP_1) | instid1(VALU_DEP_3)
	v_dual_fmac_f32 v72, 0xbf7e222b, v68 :: v_dual_add_f32 v3, v3, v23
	v_dual_add_f32 v2, v2, v26 :: v_dual_fmamk_f32 v81, v65, 0x3df6dbef, v71
	v_add_f32_e32 v69, v61, v69
	v_dual_mul_f32 v73, 0xbf6f5d39, v66 :: v_dual_add_f32 v64, v62, v64
	s_wait_dscnt 0x2
	s_delay_alu instid0(VALU_DEP_3) | instskip(SKIP_1) | instid1(VALU_DEP_3)
	v_dual_add_f32 v3, v3, v19 :: v_dual_add_f32 v2, v2, v22
	v_add_f32_e32 v78, v62, v78
	v_dual_mul_f32 v74, 0xbeb58ec6, v67 :: v_dual_fmamk_f32 v83, v65, 0xbeb58ec6, v73
	s_wait_dscnt 0x1
	s_delay_alu instid0(VALU_DEP_3) | instskip(SKIP_3) | instid1(VALU_DEP_3)
	v_dual_add_f32 v3, v3, v15 :: v_dual_add_f32 v2, v2, v18
	v_add_f32_e32 v81, v61, v81
	v_dual_mul_f32 v75, 0xbf29c268, v66 :: v_dual_add_f32 v80, v62, v80
	s_wait_dscnt 0x0
	v_dual_add_f32 v3, v3, v11 :: v_dual_add_f32 v2, v2, v14
	v_dual_mul_f32 v76, 0xbf3f9e67, v67 :: v_dual_add_f32 v77, v61, v77
	v_dual_fmamk_f32 v84, v68, 0x3f6f5d39, v74 :: v_dual_add_f32 v79, v61, v79
	s_delay_alu instid0(VALU_DEP_3) | instskip(SKIP_3) | instid1(VALU_DEP_4)
	v_dual_add_f32 v2, v2, v10 :: v_dual_add_f32 v3, v3, v7
	v_dual_add_f32 v72, v62, v72 :: v_dual_fmamk_f32 v7, v65, 0xbf3f9e67, v75
	v_fmac_f32_e32 v74, 0xbf6f5d39, v68
	v_fma_f32 v73, 0xbeb58ec6, v65, -v73
	v_add_f32_e32 v2, v2, v6
	v_mul_f32_e32 v66, 0xbe750f2a, v66
	v_dual_add_f32 v6, v62, v84 :: v_dual_add_f32 v7, v61, v7
	v_dual_add_f32 v74, v62, v74 :: v_dual_mul_f32 v67, 0xbf788fa5, v67
	v_fma_f32 v75, 0xbf3f9e67, v65, -v75
	v_fmamk_f32 v84, v68, 0x3f29c268, v76
	v_fmac_f32_e32 v76, 0xbf29c268, v68
	v_dual_sub_f32 v86, v47, v11 :: v_dual_fmamk_f32 v85, v65, 0xbf788fa5, v66
	s_delay_alu instid0(VALU_DEP_3)
	v_dual_add_f32 v75, v61, v75 :: v_dual_add_f32 v84, v62, v84
	v_fmamk_f32 v87, v68, 0x3e750f2a, v67
	v_dual_add_f32 v11, v11, v47 :: v_dual_add_f32 v88, v10, v46
	v_fmac_f32_e32 v67, 0xbe750f2a, v68
	v_dual_add_f32 v76, v62, v76 :: v_dual_mul_f32 v89, 0xbf52af12, v86
	v_fma_f32 v71, 0x3df6dbef, v65, -v71
	v_add_f32_e32 v85, v61, v85
	v_fma_f32 v47, 0xbf788fa5, v65, -v66
	v_dual_sub_f32 v10, v46, v10 :: v_dual_mul_f32 v65, 0x3f116cb1, v11
	v_fmamk_f32 v46, v88, 0x3f116cb1, v89
	v_fma_f32 v68, 0x3f116cb1, v88, -v89
	v_dual_add_f32 v70, v62, v70 :: v_dual_add_f32 v71, v61, v71
	v_dual_add_f32 v82, v62, v82 :: v_dual_add_f32 v83, v61, v83
	;; [unrolled: 1-line block ×3, first 2 shown]
	v_add_f32_e32 v47, v61, v47
	v_add_f32_e32 v61, v62, v67
	v_dual_mul_f32 v67, 0xbf6f5d39, v86 :: v_dual_add_f32 v46, v46, v77
	v_dual_fmamk_f32 v62, v10, 0x3f52af12, v65 :: v_dual_add_f32 v63, v68, v63
	v_fmac_f32_e32 v65, 0xbf52af12, v10
	v_mul_f32_e32 v77, 0xbeb58ec6, v11
	s_delay_alu instid0(VALU_DEP_3)
	v_dual_mul_f32 v87, 0xbf3f9e67, v11 :: v_dual_add_f32 v62, v62, v78
	global_wb scope:SCOPE_SE
	v_dual_add_f32 v64, v65, v64 :: v_dual_fmamk_f32 v65, v10, 0x3f6f5d39, v77
	v_fmamk_f32 v78, v88, 0xbeb58ec6, v67
	v_fma_f32 v67, 0xbeb58ec6, v88, -v67
	v_mul_f32_e32 v68, 0xbe750f2a, v86
	v_fmac_f32_e32 v77, 0xbf6f5d39, v10
	s_delay_alu instid0(VALU_DEP_4) | instskip(NEXT) | instid1(VALU_DEP_4)
	v_dual_add_f32 v65, v65, v80 :: v_dual_add_f32 v78, v78, v79
	v_dual_mul_f32 v80, 0xbf788fa5, v11 :: v_dual_add_f32 v67, v67, v69
	s_delay_alu instid0(VALU_DEP_4) | instskip(SKIP_4) | instid1(VALU_DEP_3)
	v_fmamk_f32 v79, v88, 0xbf788fa5, v68
	v_fma_f32 v68, 0xbf788fa5, v88, -v68
	v_add_f32_e32 v69, v77, v70
	v_mul_f32_e32 v70, 0x3f29c268, v86
	s_barrier_signal -1
	v_dual_add_f32 v77, v79, v81 :: v_dual_add_f32 v68, v68, v71
	s_barrier_wait -1
	s_delay_alu instid0(VALU_DEP_2)
	v_fmamk_f32 v81, v88, 0xbf3f9e67, v70
	v_fma_f32 v70, 0xbf3f9e67, v88, -v70
	global_inv scope:SCOPE_SE
	v_add_f32_e32 v70, v70, v73
	v_fmamk_f32 v79, v10, 0x3e750f2a, v80
	v_fmac_f32_e32 v80, 0xbe750f2a, v10
	s_delay_alu instid0(VALU_DEP_1) | instskip(NEXT) | instid1(VALU_DEP_3)
	v_dual_add_f32 v71, v80, v72 :: v_dual_add_f32 v72, v81, v83
	v_dual_add_f32 v79, v79, v82 :: v_dual_fmamk_f32 v80, v10, 0xbf29c268, v87
	v_mul_f32_e32 v81, 0x3f7e222b, v86
	v_mul_f32_e32 v82, 0x3df6dbef, v11
	v_mul_f32_e32 v83, 0x3eedf032, v86
	s_delay_alu instid0(VALU_DEP_4) | instskip(NEXT) | instid1(VALU_DEP_4)
	v_dual_mul_f32 v11, 0x3f62ad3f, v11 :: v_dual_add_f32 v6, v80, v6
	v_fmamk_f32 v80, v88, 0x3df6dbef, v81
	s_delay_alu instid0(VALU_DEP_4) | instskip(SKIP_2) | instid1(VALU_DEP_4)
	v_fmamk_f32 v73, v10, 0xbf7e222b, v82
	v_fmac_f32_e32 v82, 0x3f7e222b, v10
	v_fmac_f32_e32 v87, 0x3f29c268, v10
	v_add_f32_e32 v7, v80, v7
	v_fma_f32 v80, 0x3df6dbef, v88, -v81
	s_delay_alu instid0(VALU_DEP_4) | instskip(SKIP_1) | instid1(VALU_DEP_3)
	v_dual_fmamk_f32 v81, v88, 0x3f62ad3f, v83 :: v_dual_add_f32 v76, v82, v76
	v_fmamk_f32 v82, v10, 0xbeedf032, v11
	v_dual_add_f32 v74, v87, v74 :: v_dual_add_f32 v75, v80, v75
	v_dual_sub_f32 v80, v43, v15 :: v_dual_add_f32 v73, v73, v84
	s_delay_alu instid0(VALU_DEP_4) | instskip(SKIP_1) | instid1(VALU_DEP_3)
	v_dual_add_f32 v84, v14, v42 :: v_dual_add_f32 v81, v81, v85
	v_fmac_f32_e32 v11, 0x3eedf032, v10
	v_dual_mul_f32 v85, 0xbf7e222b, v80 :: v_dual_add_f32 v66, v82, v66
	v_dual_add_f32 v15, v15, v43 :: v_dual_sub_f32 v10, v42, v14
	s_delay_alu instid0(VALU_DEP_2) | instskip(SKIP_1) | instid1(VALU_DEP_3)
	v_dual_add_f32 v11, v11, v61 :: v_dual_fmamk_f32 v14, v84, 0x3df6dbef, v85
	v_fma_f32 v61, 0x3df6dbef, v84, -v85
	v_mul_f32_e32 v42, 0x3df6dbef, v15
	v_mul_f32_e32 v82, 0xbf788fa5, v15
	s_delay_alu instid0(VALU_DEP_3) | instskip(NEXT) | instid1(VALU_DEP_3)
	v_dual_add_f32 v14, v14, v46 :: v_dual_add_f32 v61, v61, v63
	v_fmamk_f32 v46, v10, 0x3f7e222b, v42
	s_delay_alu instid0(VALU_DEP_3) | instskip(SKIP_1) | instid1(VALU_DEP_2)
	v_fmamk_f32 v63, v10, 0x3e750f2a, v82
	v_fmac_f32_e32 v42, 0xbf7e222b, v10
	v_dual_add_f32 v46, v46, v62 :: v_dual_add_f32 v63, v63, v65
	s_delay_alu instid0(VALU_DEP_2) | instskip(SKIP_3) | instid1(VALU_DEP_3)
	v_add_f32_e32 v42, v42, v64
	v_fma_f32 v43, 0x3f62ad3f, v88, -v83
	v_mul_f32_e32 v64, 0x3f6f5d39, v80
	v_mul_f32_e32 v83, 0x3f62ad3f, v15
	v_add_f32_e32 v43, v43, v47
	v_mul_f32_e32 v47, 0xbe750f2a, v80
	s_delay_alu instid0(VALU_DEP_4) | instskip(NEXT) | instid1(VALU_DEP_2)
	v_fmamk_f32 v65, v84, 0xbeb58ec6, v64
	v_fmamk_f32 v62, v84, 0xbf788fa5, v47
	v_fma_f32 v47, 0xbf788fa5, v84, -v47
	s_delay_alu instid0(VALU_DEP_3) | instskip(NEXT) | instid1(VALU_DEP_2)
	v_add_f32_e32 v65, v65, v77
	v_dual_add_f32 v47, v47, v67 :: v_dual_add_f32 v62, v62, v78
	v_mul_f32_e32 v78, 0xbeb58ec6, v15
	s_delay_alu instid0(VALU_DEP_1) | instskip(SKIP_1) | instid1(VALU_DEP_2)
	v_fmamk_f32 v77, v10, 0xbf6f5d39, v78
	v_fmac_f32_e32 v82, 0xbe750f2a, v10
	v_dual_fmac_f32 v78, 0x3f6f5d39, v10 :: v_dual_add_f32 v77, v77, v79
	s_delay_alu instid0(VALU_DEP_2) | instskip(SKIP_3) | instid1(VALU_DEP_2)
	v_add_f32_e32 v67, v82, v69
	v_mul_f32_e32 v69, 0x3eedf032, v80
	v_fma_f32 v64, 0xbeb58ec6, v84, -v64
	v_mul_f32_e32 v79, 0x3f116cb1, v15
	v_dual_mul_f32 v15, 0xbf3f9e67, v15 :: v_dual_add_f32 v64, v64, v68
	v_add_f32_e32 v68, v78, v71
	v_fmamk_f32 v82, v84, 0x3f62ad3f, v69
	v_mul_f32_e32 v78, 0xbf52af12, v80
	v_fma_f32 v69, 0x3f62ad3f, v84, -v69
	s_delay_alu instid0(VALU_DEP_3) | instskip(NEXT) | instid1(VALU_DEP_2)
	v_add_f32_e32 v71, v82, v72
	v_dual_fmamk_f32 v72, v10, 0xbeedf032, v83 :: v_dual_add_f32 v69, v69, v70
	v_fmac_f32_e32 v83, 0x3eedf032, v10
	s_delay_alu instid0(VALU_DEP_2) | instskip(NEXT) | instid1(VALU_DEP_2)
	v_add_f32_e32 v6, v72, v6
	v_add_f32_e32 v70, v83, v74
	v_fmamk_f32 v74, v10, 0x3f52af12, v79
	v_fmac_f32_e32 v79, 0xbf52af12, v10
	v_fmamk_f32 v72, v84, 0x3f116cb1, v78
	s_delay_alu instid0(VALU_DEP_1) | instskip(SKIP_1) | instid1(VALU_DEP_1)
	v_add_f32_e32 v7, v72, v7
	v_fma_f32 v72, 0x3f116cb1, v84, -v78
	v_dual_add_f32 v72, v72, v75 :: v_dual_add_f32 v75, v79, v76
	v_dual_mul_f32 v80, 0xbf29c268, v80 :: v_dual_add_f32 v73, v74, v73
	v_dual_sub_f32 v76, v39, v19 :: v_dual_add_f32 v79, v18, v38
	s_delay_alu instid0(VALU_DEP_2) | instskip(SKIP_1) | instid1(VALU_DEP_3)
	v_dual_add_f32 v19, v19, v39 :: v_dual_fmamk_f32 v74, v84, 0xbf3f9e67, v80
	v_fma_f32 v80, 0xbf3f9e67, v84, -v80
	v_mul_f32_e32 v39, 0xbf6f5d39, v76
	v_fmamk_f32 v78, v10, 0x3f29c268, v15
	s_delay_alu instid0(VALU_DEP_4) | instskip(SKIP_1) | instid1(VALU_DEP_4)
	v_dual_fmac_f32 v15, 0xbf29c268, v10 :: v_dual_add_f32 v74, v74, v81
	v_sub_f32_e32 v10, v38, v18
	v_fmamk_f32 v38, v79, 0xbeb58ec6, v39
	v_fma_f32 v39, 0xbeb58ec6, v79, -v39
	v_mul_f32_e32 v18, 0xbeb58ec6, v19
	v_dual_add_f32 v43, v80, v43 :: v_dual_add_f32 v66, v78, v66
	s_delay_alu instid0(VALU_DEP_3) | instskip(SKIP_1) | instid1(VALU_DEP_1)
	v_dual_add_f32 v14, v38, v14 :: v_dual_add_f32 v39, v39, v61
	v_mul_f32_e32 v38, 0x3f29c268, v76
	v_fmamk_f32 v78, v79, 0xbf3f9e67, v38
	v_fma_f32 v38, 0xbf3f9e67, v79, -v38
	s_delay_alu instid0(VALU_DEP_2) | instskip(NEXT) | instid1(VALU_DEP_2)
	v_add_f32_e32 v62, v78, v62
	v_add_f32_e32 v38, v38, v47
	;; [unrolled: 1-line block ×3, first 2 shown]
	v_fmamk_f32 v15, v10, 0x3f6f5d39, v18
	s_delay_alu instid0(VALU_DEP_1) | instskip(NEXT) | instid1(VALU_DEP_1)
	v_dual_add_f32 v15, v15, v46 :: v_dual_mul_f32 v46, 0xbf3f9e67, v19
	v_fmamk_f32 v61, v10, 0xbf29c268, v46
	s_delay_alu instid0(VALU_DEP_1) | instskip(SKIP_1) | instid1(VALU_DEP_2)
	v_dual_fmac_f32 v46, 0x3f29c268, v10 :: v_dual_add_f32 v61, v61, v63
	v_mul_f32_e32 v63, 0x3f62ad3f, v19
	v_add_f32_e32 v46, v46, v67
	s_delay_alu instid0(VALU_DEP_2) | instskip(SKIP_2) | instid1(VALU_DEP_2)
	v_fmamk_f32 v67, v10, 0xbeedf032, v63
	v_fmac_f32_e32 v18, 0xbf6f5d39, v10
	v_fmac_f32_e32 v63, 0x3eedf032, v10
	v_dual_add_f32 v67, v67, v77 :: v_dual_add_f32 v18, v18, v42
	v_mul_f32_e32 v42, 0x3eedf032, v76
	s_delay_alu instid0(VALU_DEP_3) | instskip(NEXT) | instid1(VALU_DEP_2)
	v_add_f32_e32 v63, v63, v68
	v_fmamk_f32 v78, v79, 0x3f62ad3f, v42
	v_fma_f32 v42, 0x3f62ad3f, v79, -v42
	s_delay_alu instid0(VALU_DEP_2) | instskip(SKIP_1) | instid1(VALU_DEP_1)
	v_add_f32_e32 v47, v78, v65
	v_mul_f32_e32 v65, 0xbf7e222b, v76
	v_fmamk_f32 v80, v79, 0x3df6dbef, v65
	v_fma_f32 v65, 0x3df6dbef, v79, -v65
	s_delay_alu instid0(VALU_DEP_2) | instskip(NEXT) | instid1(VALU_DEP_2)
	v_dual_add_f32 v68, v80, v71 :: v_dual_mul_f32 v71, 0x3e750f2a, v76
	v_dual_add_f32 v42, v42, v64 :: v_dual_add_f32 v65, v65, v69
	s_delay_alu instid0(VALU_DEP_2) | instskip(SKIP_2) | instid1(VALU_DEP_3)
	v_fmamk_f32 v77, v79, 0xbf788fa5, v71
	v_fma_f32 v71, 0xbf788fa5, v79, -v71
	v_mul_f32_e32 v78, 0x3df6dbef, v19
	v_add_f32_e32 v7, v77, v7
	s_delay_alu instid0(VALU_DEP_2) | instskip(SKIP_1) | instid1(VALU_DEP_1)
	v_dual_add_f32 v71, v71, v72 :: v_dual_fmamk_f32 v64, v10, 0x3f7e222b, v78
	v_fmac_f32_e32 v78, 0xbf7e222b, v10
	v_dual_add_f32 v69, v78, v70 :: v_dual_mul_f32 v70, 0x3f52af12, v76
	s_delay_alu instid0(VALU_DEP_1) | instskip(NEXT) | instid1(VALU_DEP_1)
	v_fmamk_f32 v77, v79, 0x3f116cb1, v70
	v_add_f32_e32 v72, v77, v74
	v_sub_f32_e32 v74, v35, v23
	v_dual_add_f32 v23, v23, v35 :: v_dual_add_f32 v6, v64, v6
	v_dual_mul_f32 v64, 0xbf788fa5, v19 :: v_dual_add_f32 v35, v22, v34
	v_dual_mul_f32 v19, 0x3f116cb1, v19 :: v_dual_sub_f32 v22, v34, v22
	s_delay_alu instid0(VALU_DEP_2) | instskip(SKIP_1) | instid1(VALU_DEP_1)
	v_dual_add_f32 v77, v27, v31 :: v_dual_fmamk_f32 v76, v10, 0xbe750f2a, v64
	v_fmac_f32_e32 v64, 0x3e750f2a, v10
	v_dual_add_f32 v64, v64, v75 :: v_dual_fmamk_f32 v75, v10, 0xbf52af12, v19
	s_delay_alu instid0(VALU_DEP_1) | instskip(SKIP_4) | instid1(VALU_DEP_3)
	v_add_f32_e32 v34, v75, v66
	v_fmac_f32_e32 v19, 0x3f52af12, v10
	v_fma_f32 v70, 0x3f116cb1, v79, -v70
	v_mul_f32_e32 v10, 0xbf3f9e67, v23
	v_mul_f32_e32 v75, 0x3df6dbef, v23
	v_add_f32_e32 v43, v70, v43
	s_delay_alu instid0(VALU_DEP_3) | instskip(SKIP_1) | instid1(VALU_DEP_2)
	v_dual_add_f32 v70, v19, v11 :: v_dual_fmamk_f32 v11, v22, 0x3f29c268, v10
	v_mul_f32_e32 v19, 0x3f7e222b, v74
	v_add_f32_e32 v11, v11, v15
	s_delay_alu instid0(VALU_DEP_2) | instskip(SKIP_2) | instid1(VALU_DEP_3)
	v_fmamk_f32 v15, v35, 0x3df6dbef, v19
	v_fma_f32 v19, 0x3df6dbef, v35, -v19
	v_add_f32_e32 v73, v76, v73
	v_dual_add_f32 v15, v15, v62 :: v_dual_fmamk_f32 v62, v22, 0xbf7e222b, v75
	s_delay_alu instid0(VALU_DEP_3) | instskip(SKIP_1) | instid1(VALU_DEP_3)
	v_add_f32_e32 v19, v19, v38
	v_mul_f32_e32 v76, 0xbf29c268, v74
	v_dual_fmac_f32 v10, 0xbf29c268, v22 :: v_dual_add_f32 v61, v62, v61
	v_mul_f32_e32 v62, 0x3e750f2a, v74
	s_delay_alu instid0(VALU_DEP_3) | instskip(NEXT) | instid1(VALU_DEP_3)
	v_fmamk_f32 v66, v35, 0xbf3f9e67, v76
	v_add_f32_e32 v18, v10, v18
	v_mul_f32_e32 v10, 0xbf52af12, v74
	s_delay_alu instid0(VALU_DEP_3) | instskip(SKIP_2) | instid1(VALU_DEP_2)
	v_add_f32_e32 v14, v66, v14
	v_fma_f32 v66, 0xbf3f9e67, v35, -v76
	v_mul_f32_e32 v76, 0x3f116cb1, v23
	v_dual_add_f32 v39, v66, v39 :: v_dual_fmamk_f32 v66, v35, 0x3f116cb1, v10
	v_fma_f32 v10, 0x3f116cb1, v35, -v10
	s_delay_alu instid0(VALU_DEP_1) | instskip(SKIP_1) | instid1(VALU_DEP_1)
	v_add_f32_e32 v42, v10, v42
	v_fmac_f32_e32 v75, 0x3f7e222b, v22
	v_add_f32_e32 v38, v75, v46
	v_add_f32_e32 v46, v66, v47
	v_fmamk_f32 v47, v22, 0x3f52af12, v76
	v_mul_f32_e32 v66, 0xbf788fa5, v23
	s_delay_alu instid0(VALU_DEP_2) | instskip(SKIP_1) | instid1(VALU_DEP_3)
	v_add_f32_e32 v47, v47, v67
	v_fmamk_f32 v67, v35, 0xbf788fa5, v62
	v_fmamk_f32 v10, v22, 0xbe750f2a, v66
	v_fma_f32 v62, 0xbf788fa5, v35, -v62
	v_mul_f32_e32 v75, 0x3eedf032, v74
	s_delay_alu instid0(VALU_DEP_4) | instskip(NEXT) | instid1(VALU_DEP_4)
	v_dual_fmac_f32 v66, 0x3e750f2a, v22 :: v_dual_add_f32 v67, v67, v68
	v_add_f32_e32 v68, v10, v6
	v_mul_f32_e32 v10, 0x3f62ad3f, v23
	v_add_f32_e32 v62, v62, v65
	s_delay_alu instid0(VALU_DEP_4) | instskip(NEXT) | instid1(VALU_DEP_1)
	v_dual_fmamk_f32 v6, v35, 0x3f62ad3f, v75 :: v_dual_add_f32 v65, v66, v69
	v_dual_mul_f32 v66, 0xbf6f5d39, v74 :: v_dual_add_f32 v69, v6, v7
	s_delay_alu instid0(VALU_DEP_4) | instskip(SKIP_3) | instid1(VALU_DEP_4)
	v_fmamk_f32 v6, v22, 0xbeedf032, v10
	v_fma_f32 v7, 0x3f62ad3f, v35, -v75
	v_mul_f32_e32 v75, 0xbeb58ec6, v23
	v_mul_f32_e32 v23, 0xbf788fa5, v77
	v_dual_fmamk_f32 v74, v35, 0xbeb58ec6, v66 :: v_dual_add_f32 v73, v6, v73
	s_delay_alu instid0(VALU_DEP_4) | instskip(NEXT) | instid1(VALU_DEP_4)
	v_dual_fmac_f32 v76, 0xbf52af12, v22 :: v_dual_add_f32 v71, v7, v71
	v_fmamk_f32 v6, v22, 0x3f6f5d39, v75
	s_delay_alu instid0(VALU_DEP_3) | instskip(NEXT) | instid1(VALU_DEP_3)
	v_dual_add_f32 v72, v74, v72 :: v_dual_fmac_f32 v75, 0xbf6f5d39, v22
	v_add_f32_e32 v63, v76, v63
	v_sub_f32_e32 v76, v31, v27
	v_fmac_f32_e32 v10, 0x3eedf032, v22
	v_add_f32_e32 v78, v26, v30
	s_delay_alu instid0(VALU_DEP_3) | instskip(SKIP_1) | instid1(VALU_DEP_4)
	v_dual_add_f32 v74, v6, v34 :: v_dual_mul_f32 v7, 0xbe750f2a, v76
	v_mul_f32_e32 v27, 0x3eedf032, v76
	v_add_f32_e32 v64, v10, v64
	v_fma_f32 v10, 0xbeb58ec6, v35, -v66
	v_dual_sub_f32 v66, v30, v26 :: v_dual_mul_f32 v35, 0x3f116cb1, v77
	v_fmamk_f32 v26, v78, 0xbf788fa5, v7
	s_delay_alu instid0(VALU_DEP_3) | instskip(NEXT) | instid1(VALU_DEP_3)
	v_dual_mul_f32 v34, 0x3f52af12, v76 :: v_dual_add_f32 v79, v10, v43
	v_fmamk_f32 v10, v66, 0x3e750f2a, v23
	v_fmac_f32_e32 v23, 0xbe750f2a, v66
	s_delay_alu instid0(VALU_DEP_4) | instskip(SKIP_4) | instid1(VALU_DEP_4)
	v_add_f32_e32 v6, v26, v14
	v_fma_f32 v14, 0xbf788fa5, v78, -v7
	v_mul_f32_e32 v43, 0xbeb58ec6, v77
	v_fmamk_f32 v30, v78, 0x3f62ad3f, v27
	v_add_f32_e32 v7, v10, v11
	v_dual_add_f32 v11, v23, v18 :: v_dual_add_f32 v10, v14, v39
	v_fma_f32 v23, 0x3f62ad3f, v78, -v27
	s_delay_alu instid0(VALU_DEP_4) | instskip(SKIP_1) | instid1(VALU_DEP_1)
	v_dual_add_f32 v14, v30, v15 :: v_dual_mul_f32 v27, 0xbf29c268, v76
	v_mul_f32_e32 v30, 0xbf3f9e67, v77
	v_dual_add_f32 v70, v75, v70 :: v_dual_fmamk_f32 v31, v66, 0x3f29c268, v30
	v_fmac_f32_e32 v30, 0xbf29c268, v66
	v_mul_f32_e32 v26, 0x3f62ad3f, v77
	s_delay_alu instid0(VALU_DEP_1) | instskip(NEXT) | instid1(VALU_DEP_1)
	v_fmamk_f32 v18, v66, 0xbeedf032, v26
	v_dual_fmac_f32 v26, 0x3eedf032, v66 :: v_dual_add_f32 v15, v18, v61
	v_dual_add_f32 v18, v23, v19 :: v_dual_fmamk_f32 v23, v78, 0xbf3f9e67, v27
	s_delay_alu instid0(VALU_DEP_2) | instskip(SKIP_1) | instid1(VALU_DEP_3)
	v_dual_add_f32 v19, v26, v38 :: v_dual_mul_f32 v38, 0xbf6f5d39, v76
	v_fma_f32 v26, 0xbf3f9e67, v78, -v27
	v_dual_add_f32 v27, v30, v63 :: v_dual_add_f32 v22, v23, v46
	v_add_f32_e32 v23, v31, v47
	v_fmamk_f32 v31, v78, 0x3f116cb1, v34
	v_fma_f32 v34, 0x3f116cb1, v78, -v34
	v_fmamk_f32 v39, v78, 0xbeb58ec6, v38
	v_dual_mul_f32 v47, 0x3f7e222b, v76 :: v_dual_add_f32 v26, v26, v42
	s_delay_alu instid0(VALU_DEP_4) | instskip(NEXT) | instid1(VALU_DEP_4)
	v_add_f32_e32 v30, v31, v67
	v_add_f32_e32 v34, v34, v62
	v_mul_f32_e32 v62, 0x3df6dbef, v77
	v_fmamk_f32 v42, v66, 0x3f6f5d39, v43
	v_fma_f32 v46, 0xbeb58ec6, v78, -v38
	v_add_f32_e32 v38, v39, v69
	v_fma_f32 v63, 0x3df6dbef, v78, -v47
	v_fmamk_f32 v61, v66, 0xbf7e222b, v62
	v_fmamk_f32 v31, v66, 0xbf52af12, v35
	v_add_f32_e32 v39, v42, v73
	v_add_f32_e32 v42, v46, v71
	v_fmamk_f32 v46, v78, 0x3df6dbef, v47
	v_fmac_f32_e32 v62, 0x3f7e222b, v66
	v_fmac_f32_e32 v35, 0x3f52af12, v66
	;; [unrolled: 1-line block ×3, first 2 shown]
	v_add_f32_e32 v47, v61, v74
	v_add_f32_e32 v61, v63, v79
	v_mad_u32_u24 v63, 0x68, v54, v55
	v_add_f32_e32 v31, v31, v68
	v_add_f32_e32 v46, v46, v72
	v_dual_add_f32 v62, v62, v70 :: v_dual_add_f32 v35, v35, v65
	v_add_f32_e32 v43, v43, v64
	ds_store_2addr_b64 v63, v[2:3], v[6:7] offset1:1
	ds_store_2addr_b64 v63, v[14:15], v[22:23] offset0:2 offset1:3
	ds_store_2addr_b64 v63, v[30:31], v[38:39] offset0:4 offset1:5
	;; [unrolled: 1-line block ×5, first 2 shown]
	ds_store_b64 v63, v[10:11] offset:96
	v_cmpx_gt_u32_e32 12, v54
	s_cbranch_execz .LBB0_15
; %bb.14:
	v_dual_add_f32 v66, v53, v45 :: v_dual_sub_f32 v15, v44, v52
	v_dual_add_f32 v65, v5, v41 :: v_dual_sub_f32 v14, v36, v8
	v_dual_sub_f32 v11, v40, v4 :: v_dual_add_f32 v64, v9, v37
	s_delay_alu instid0(VALU_DEP_3) | instskip(SKIP_1) | instid1(VALU_DEP_2)
	v_dual_mul_f32 v31, 0xbf788fa5, v66 :: v_dual_add_f32 v62, v13, v33
	v_dual_sub_f32 v10, v32, v12 :: v_dual_add_f32 v63, v17, v29
	v_dual_sub_f32 v67, v45, v53 :: v_dual_fmamk_f32 v2, v15, 0x3e750f2a, v31
	s_delay_alu instid0(VALU_DEP_3) | instskip(SKIP_1) | instid1(VALU_DEP_3)
	v_dual_mul_f32 v35, 0x3f116cb1, v62 :: v_dual_sub_f32 v68, v41, v5
	v_mul_f32_e32 v39, 0xbf3f9e67, v64
	v_dual_mul_f32 v42, 0xbe750f2a, v67 :: v_dual_sub_f32 v69, v37, v9
	v_add_f32_e32 v22, v4, v40
	s_delay_alu instid0(VALU_DEP_4) | instskip(SKIP_4) | instid1(VALU_DEP_4)
	v_mul_f32_e32 v43, 0x3eedf032, v68
	v_mul_f32_e32 v34, 0x3f62ad3f, v65
	v_add_f32_e32 v2, v1, v2
	v_add_f32_e32 v18, v52, v44
	v_dual_fmamk_f32 v6, v14, 0x3f29c268, v39 :: v_dual_add_f32 v23, v8, v36
	v_fmamk_f32 v3, v11, 0xbeedf032, v34
	v_dual_mul_f32 v38, 0xbeb58ec6, v63 :: v_dual_add_f32 v61, v21, v25
	s_delay_alu instid0(VALU_DEP_4) | instskip(NEXT) | instid1(VALU_DEP_3)
	v_fmamk_f32 v7, v18, 0xbf788fa5, v42
	v_dual_mul_f32 v81, 0xbf3f9e67, v65 :: v_dual_add_f32 v2, v3, v2
	v_fmamk_f32 v3, v10, 0xbf52af12, v35
	v_dual_sub_f32 v19, v28, v16 :: v_dual_sub_f32 v70, v33, v13
	s_delay_alu instid0(VALU_DEP_3) | instskip(NEXT) | instid1(VALU_DEP_2)
	v_dual_mul_f32 v95, 0xbeb58ec6, v64 :: v_dual_add_f32 v2, v6, v2
	v_dual_add_f32 v6, v0, v7 :: v_dual_fmamk_f32 v7, v19, 0x3f6f5d39, v38
	s_delay_alu instid0(VALU_DEP_3) | instskip(NEXT) | instid1(VALU_DEP_3)
	v_dual_add_f32 v26, v12, v32 :: v_dual_mul_f32 v47, 0x3f52af12, v70
	v_dual_add_f32 v2, v3, v2 :: v_dual_mul_f32 v27, 0x3df6dbef, v61
	v_fmamk_f32 v3, v22, 0x3f62ad3f, v43
	v_mul_f32_e32 v46, 0xbf29c268, v69
	v_dual_add_f32 v44, v0, v44 :: v_dual_sub_f32 v71, v29, v17
	v_mul_f32_e32 v101, 0x3f116cb1, v66
	s_delay_alu instid0(VALU_DEP_4) | instskip(NEXT) | instid1(VALU_DEP_4)
	v_add_f32_e32 v3, v3, v6
	v_fmamk_f32 v6, v23, 0xbf3f9e67, v46
	v_mul_f32_e32 v93, 0xbf788fa5, v65
	v_mul_f32_e32 v89, 0x3e750f2a, v71
	;; [unrolled: 1-line block ×4, first 2 shown]
	v_dual_add_f32 v3, v6, v3 :: v_dual_add_f32 v6, v1, v45
	v_fmamk_f32 v45, v26, 0x3f116cb1, v47
	v_mul_f32_e32 v72, 0xbf3f9e67, v66
	v_sub_f32_e32 v30, v24, v20
	v_add_f32_e32 v2, v7, v2
	v_dual_add_f32 v6, v6, v41 :: v_dual_add_f32 v41, v44, v40
	v_add_f32_e32 v7, v45, v3
	v_dual_fmamk_f32 v45, v15, 0x3f29c268, v72 :: v_dual_add_f32 v40, v16, v28
	v_mul_f32_e32 v44, 0xbf6f5d39, v71
	s_delay_alu instid0(VALU_DEP_4) | instskip(SKIP_2) | instid1(VALU_DEP_4)
	v_add_f32_e32 v6, v6, v37
	v_sub_f32_e32 v37, v25, v21
	v_dual_add_f32 v36, v41, v36 :: v_dual_fmamk_f32 v3, v30, 0xbf7e222b, v27
	v_fmamk_f32 v75, v40, 0xbeb58ec6, v44
	v_dual_add_f32 v41, v1, v45 :: v_dual_mul_f32 v74, 0x3f116cb1, v64
	v_dual_fmamk_f32 v45, v11, 0xbf7e222b, v73 :: v_dual_add_f32 v6, v6, v33
	s_delay_alu instid0(VALU_DEP_4) | instskip(SKIP_2) | instid1(VALU_DEP_4)
	v_add_f32_e32 v33, v36, v32
	v_add_f32_e32 v32, v20, v24
	v_dual_mul_f32 v36, 0x3f7e222b, v37 :: v_dual_add_f32 v3, v3, v2
	v_add_f32_e32 v41, v45, v41
	v_dual_fmamk_f32 v45, v14, 0x3f52af12, v74 :: v_dual_add_f32 v2, v75, v7
	v_mul_f32_e32 v76, 0xbf29c268, v67
	s_delay_alu instid0(VALU_DEP_4) | instskip(SKIP_1) | instid1(VALU_DEP_4)
	v_dual_fmamk_f32 v7, v32, 0x3df6dbef, v36 :: v_dual_add_f32 v6, v6, v29
	v_dual_mul_f32 v75, 0xbf788fa5, v62 :: v_dual_add_f32 v28, v33, v28
	v_add_f32_e32 v41, v45, v41
	s_delay_alu instid0(VALU_DEP_3) | instskip(NEXT) | instid1(VALU_DEP_3)
	v_dual_fmamk_f32 v45, v18, 0xbf3f9e67, v76 :: v_dual_add_f32 v2, v7, v2
	v_dual_fmamk_f32 v29, v10, 0xbe750f2a, v75 :: v_dual_add_f32 v24, v28, v24
	s_delay_alu instid0(VALU_DEP_2) | instskip(SKIP_1) | instid1(VALU_DEP_3)
	v_dual_mul_f32 v78, 0x3f62ad3f, v63 :: v_dual_add_f32 v45, v0, v45
	v_dual_mul_f32 v77, 0x3f7e222b, v68 :: v_dual_add_f32 v6, v6, v25
	v_dual_add_f32 v29, v29, v41 :: v_dual_mul_f32 v28, 0x3eedf032, v71
	s_delay_alu instid0(VALU_DEP_3) | instskip(NEXT) | instid1(VALU_DEP_3)
	v_fmamk_f32 v33, v19, 0xbeedf032, v78
	v_dual_fmamk_f32 v79, v22, 0x3df6dbef, v77 :: v_dual_add_f32 v20, v24, v20
	s_delay_alu instid0(VALU_DEP_4) | instskip(NEXT) | instid1(VALU_DEP_3)
	v_add_f32_e32 v6, v6, v21
	v_dual_mul_f32 v82, 0xbf6f5d39, v67 :: v_dual_add_f32 v7, v33, v29
	v_mul_f32_e32 v80, 0xbf52af12, v69
	s_delay_alu instid0(VALU_DEP_4) | instskip(SKIP_1) | instid1(VALU_DEP_3)
	v_add_f32_e32 v41, v79, v45
	v_dual_mul_f32 v79, 0x3e750f2a, v70 :: v_dual_add_f32 v16, v20, v16
	v_dual_add_f32 v6, v6, v17 :: v_dual_fmamk_f32 v45, v23, 0x3f116cb1, v80
	v_mul_f32_e32 v84, 0x3f29c268, v68
	v_mul_f32_e32 v86, 0xbf7e222b, v70
	s_delay_alu instid0(VALU_DEP_4)
	v_add_f32_e32 v12, v16, v12
	v_mul_f32_e32 v88, 0xbf6f5d39, v37
	v_add_f32_e32 v33, v45, v41
	v_fmamk_f32 v41, v26, 0xbf788fa5, v79
	v_mul_f32_e32 v45, 0xbeb58ec6, v61
	v_dual_fmamk_f32 v21, v11, 0xbf29c268, v81 :: v_dual_add_f32 v6, v6, v13
	s_delay_alu instid0(VALU_DEP_3) | instskip(SKIP_2) | instid1(VALU_DEP_3)
	v_dual_add_f32 v12, v12, v8 :: v_dual_add_f32 v33, v41, v33
	v_fmamk_f32 v41, v40, 0x3f62ad3f, v28
	v_fmamk_f32 v8, v32, 0xbeb58ec6, v88
	v_dual_mul_f32 v85, 0x3df6dbef, v62 :: v_dual_add_f32 v4, v12, v4
	s_delay_alu instid0(VALU_DEP_3)
	v_dual_mul_f32 v92, 0x3df6dbef, v66 :: v_dual_add_f32 v33, v41, v33
	v_fmamk_f32 v41, v18, 0xbeb58ec6, v82
	v_mul_f32_e32 v29, 0xbeb58ec6, v66
	v_mul_f32_e32 v83, 0x3f62ad3f, v64
	v_fmamk_f32 v13, v10, 0x3f7e222b, v85
	v_mul_f32_e32 v94, 0xbe750f2a, v68
	s_delay_alu instid0(VALU_DEP_4) | instskip(NEXT) | instid1(VALU_DEP_4)
	v_dual_add_f32 v20, v0, v41 :: v_dual_fmamk_f32 v25, v15, 0x3f6f5d39, v29
	v_fmamk_f32 v17, v14, 0xbeedf032, v83
	v_mul_f32_e32 v41, 0x3eedf032, v69
	v_mul_f32_e32 v87, 0xbf788fa5, v63
	;; [unrolled: 1-line block ×3, first 2 shown]
	v_add_f32_e32 v25, v1, v25
	v_mul_f32_e32 v90, 0x3f116cb1, v61
	v_mul_f32_e32 v109, 0x3f29c268, v70
	v_dual_mul_f32 v97, 0x3f62ad3f, v62 :: v_dual_add_f32 v4, v4, v52
	s_delay_alu instid0(VALU_DEP_4) | instskip(SKIP_3) | instid1(VALU_DEP_4)
	v_add_f32_e32 v21, v21, v25
	v_fmamk_f32 v25, v22, 0xbf3f9e67, v84
	v_mul_f32_e32 v52, 0xbeb58ec6, v65
	v_fmamk_f32 v24, v30, 0x3f6f5d39, v45
	v_dual_mul_f32 v98, 0x3eedf032, v70 :: v_dual_add_f32 v17, v17, v21
	s_delay_alu instid0(VALU_DEP_4) | instskip(SKIP_1) | instid1(VALU_DEP_3)
	v_dual_add_f32 v20, v25, v20 :: v_dual_fmamk_f32 v21, v23, 0x3f62ad3f, v41
	v_mul_f32_e32 v70, 0xbf6f5d39, v70
	v_dual_mul_f32 v102, 0xbf52af12, v67 :: v_dual_add_f32 v13, v13, v17
	v_mul_f32_e32 v104, 0xbf29c268, v37
	s_delay_alu instid0(VALU_DEP_4) | instskip(SKIP_2) | instid1(VALU_DEP_4)
	v_add_f32_e32 v16, v21, v20
	v_dual_fmamk_f32 v20, v26, 0x3df6dbef, v86 :: v_dual_add_f32 v7, v24, v7
	v_fmac_f32_e32 v29, 0xbf6f5d39, v15
	v_fmamk_f32 v24, v32, 0xbf3f9e67, v104
	v_fmac_f32_e32 v78, 0x3eedf032, v19
	s_delay_alu instid0(VALU_DEP_4) | instskip(SKIP_4) | instid1(VALU_DEP_4)
	v_add_f32_e32 v16, v20, v16
	v_add_f32_e32 v20, v6, v9
	v_dual_add_f32 v29, v1, v29 :: v_dual_fmamk_f32 v6, v40, 0xbf788fa5, v89
	v_fmac_f32_e32 v81, 0x3f29c268, v11
	v_fmac_f32_e32 v85, 0xbf7e222b, v10
	v_dual_add_f32 v5, v20, v5 :: v_dual_fmamk_f32 v20, v22, 0xbf788fa5, v94
	s_delay_alu instid0(VALU_DEP_4) | instskip(NEXT) | instid1(VALU_DEP_4)
	v_dual_fmamk_f32 v17, v19, 0xbe750f2a, v87 :: v_dual_add_f32 v16, v6, v16
	v_add_f32_e32 v29, v81, v29
	v_dual_fmac_f32 v39, 0xbf29c268, v14 :: v_dual_fmac_f32 v72, 0xbf29c268, v15
	s_delay_alu instid0(VALU_DEP_3) | instskip(SKIP_3) | instid1(VALU_DEP_3)
	v_add_f32_e32 v9, v17, v13
	v_fmamk_f32 v17, v32, 0x3f116cb1, v91
	v_dual_fmamk_f32 v13, v30, 0xbf52af12, v90 :: v_dual_add_f32 v6, v8, v33
	v_mul_f32_e32 v33, 0xbf7e222b, v67
	v_dual_fmac_f32 v83, 0x3eedf032, v14 :: v_dual_add_f32 v8, v17, v16
	s_delay_alu instid0(VALU_DEP_3) | instskip(NEXT) | instid1(VALU_DEP_3)
	v_dual_add_f32 v9, v13, v9 :: v_dual_fmac_f32 v34, 0x3eedf032, v11
	v_fmamk_f32 v13, v18, 0x3df6dbef, v33
	v_mul_f32_e32 v68, 0xbf52af12, v68
	v_fmac_f32_e32 v87, 0x3e750f2a, v19
	v_fmac_f32_e32 v90, 0x3f52af12, v30
	v_mul_f32_e32 v100, 0xbf3f9e67, v61
	v_add_f32_e32 v13, v0, v13
	v_fma_f32 v36, 0x3df6dbef, v32, -v36
	v_mul_f32_e32 v112, 0x3eedf032, v37
	v_fmac_f32_e32 v45, 0xbf6f5d39, v30
	v_dual_mul_f32 v111, 0x3f62ad3f, v61 :: v_dual_mul_f32 v66, 0x3f62ad3f, v66
	v_add_f32_e32 v12, v20, v13
	v_fmamk_f32 v20, v15, 0x3f52af12, v101
	v_fmamk_f32 v21, v15, 0x3f7e222b, v92
	v_add_f32_e32 v5, v5, v53
	v_mul_f32_e32 v53, 0xbf52af12, v71
	v_mul_f32_e32 v99, 0x3f116cb1, v63
	v_fmac_f32_e32 v92, 0xbf7e222b, v15
	v_dual_add_f32 v16, v1, v21 :: v_dual_fmamk_f32 v21, v22, 0xbeb58ec6, v105
	v_fmamk_f32 v17, v11, 0x3e750f2a, v93
	v_dual_add_f32 v29, v83, v29 :: v_dual_fmac_f32 v74, 0xbf52af12, v14
	v_fmamk_f32 v113, v32, 0x3f62ad3f, v112
	s_delay_alu instid0(VALU_DEP_3) | instskip(SKIP_1) | instid1(VALU_DEP_4)
	v_dual_mul_f32 v67, 0xbeedf032, v67 :: v_dual_add_f32 v16, v17, v16
	v_fmamk_f32 v17, v14, 0xbf6f5d39, v95
	v_add_f32_e32 v29, v85, v29
	v_fma_f32 v43, 0x3f62ad3f, v22, -v43
	v_mul_f32_e32 v65, 0x3f116cb1, v65
	s_delay_alu instid0(VALU_DEP_4) | instskip(SKIP_4) | instid1(VALU_DEP_4)
	v_dual_fmac_f32 v75, 0x3e750f2a, v10 :: v_dual_add_f32 v16, v17, v16
	v_fmamk_f32 v17, v10, 0xbeedf032, v97
	v_add_f32_e32 v29, v87, v29
	v_fmac_f32_e32 v35, 0x3f52af12, v10
	v_fmamk_f32 v25, v22, 0x3f116cb1, v68
	v_dual_mul_f32 v107, 0xbe750f2a, v69 :: v_dual_add_f32 v16, v17, v16
	v_fmamk_f32 v17, v19, 0x3f52af12, v99
	v_mul_f32_e32 v96, 0x3f6f5d39, v69
	v_mul_f32_e32 v106, 0xbf3f9e67, v62
	;; [unrolled: 1-line block ×4, first 2 shown]
	v_fmac_f32_e32 v38, 0xbf6f5d39, v19
	v_fmamk_f32 v13, v23, 0xbeb58ec6, v96
	s_delay_alu instid0(VALU_DEP_1) | instskip(SKIP_1) | instid1(VALU_DEP_1)
	v_dual_fmac_f32 v95, 0x3f6f5d39, v14 :: v_dual_add_f32 v12, v13, v12
	v_fmamk_f32 v13, v26, 0x3f62ad3f, v98
	v_add_f32_e32 v12, v13, v12
	v_dual_add_f32 v13, v17, v16 :: v_dual_fmamk_f32 v16, v40, 0x3f116cb1, v53
	s_delay_alu instid0(VALU_DEP_1) | instskip(SKIP_2) | instid1(VALU_DEP_1)
	v_dual_fmac_f32 v99, 0xbf52af12, v19 :: v_dual_add_f32 v12, v16, v12
	v_add_f32_e32 v16, v1, v20
	v_fmamk_f32 v20, v18, 0x3f116cb1, v102
	v_add_f32_e32 v20, v0, v20
	s_delay_alu instid0(VALU_DEP_1) | instskip(NEXT) | instid1(VALU_DEP_1)
	v_dual_add_f32 v20, v21, v20 :: v_dual_fmamk_f32 v21, v23, 0xbf788fa5, v107
	v_dual_add_f32 v20, v21, v20 :: v_dual_fmamk_f32 v21, v26, 0xbf3f9e67, v109
	v_fmamk_f32 v17, v30, 0x3f29c268, v100
	v_mul_f32_e32 v108, 0x3df6dbef, v63
	v_mul_f32_e32 v63, 0xbf3f9e67, v63
	v_fmac_f32_e32 v100, 0xbf29c268, v30
	v_fmac_f32_e32 v27, 0x3f7e222b, v30
	v_add_f32_e32 v13, v17, v13
	v_fmamk_f32 v17, v11, 0x3f6f5d39, v52
	v_fmamk_f32 v114, v19, 0x3f29c268, v63
	v_mul_f32_e32 v103, 0xbf788fa5, v64
	v_fmac_f32_e32 v52, 0xbf6f5d39, v11
	s_delay_alu instid0(VALU_DEP_4) | instskip(SKIP_1) | instid1(VALU_DEP_4)
	v_dual_fmac_f32 v31, 0xbe750f2a, v15 :: v_dual_add_f32 v16, v17, v16
	v_mul_f32_e32 v64, 0x3df6dbef, v64
	v_fmamk_f32 v17, v14, 0x3e750f2a, v103
	v_mul_f32_e32 v37, 0xbe750f2a, v37
	s_delay_alu instid0(VALU_DEP_4) | instskip(SKIP_1) | instid1(VALU_DEP_4)
	v_add_f32_e32 v31, v1, v31
	v_mul_f32_e32 v110, 0x3f7e222b, v71
	v_dual_mul_f32 v71, 0xbf29c268, v71 :: v_dual_add_f32 v16, v17, v16
	v_fmamk_f32 v17, v10, 0xbf29c268, v106
	v_fmac_f32_e32 v106, 0x3f29c268, v10
	v_fmac_f32_e32 v73, 0x3f7e222b, v11
	;; [unrolled: 1-line block ×3, first 2 shown]
	s_delay_alu instid0(VALU_DEP_4) | instskip(SKIP_1) | instid1(VALU_DEP_1)
	v_dual_fmac_f32 v97, 0x3eedf032, v10 :: v_dual_add_f32 v16, v17, v16
	v_fmamk_f32 v17, v19, 0xbf7e222b, v108
	v_add_f32_e32 v16, v17, v16
	v_dual_add_f32 v17, v21, v20 :: v_dual_fmamk_f32 v20, v40, 0x3df6dbef, v110
	v_fmamk_f32 v21, v30, 0xbeedf032, v111
	v_fmac_f32_e32 v108, 0x3f7e222b, v19
	s_delay_alu instid0(VALU_DEP_3) | instskip(NEXT) | instid1(VALU_DEP_3)
	v_dual_fmac_f32 v111, 0x3eedf032, v30 :: v_dual_add_f32 v20, v20, v17
	v_add_f32_e32 v17, v21, v16
	v_add_f32_e32 v12, v24, v12
	v_fmamk_f32 v24, v15, 0x3eedf032, v66
	v_fmamk_f32 v21, v11, 0x3f52af12, v65
	v_fmac_f32_e32 v66, 0xbeedf032, v15
	s_delay_alu instid0(VALU_DEP_3) | instskip(SKIP_1) | instid1(VALU_DEP_2)
	v_add_f32_e32 v16, v1, v24
	v_fmamk_f32 v24, v18, 0x3f62ad3f, v67
	v_dual_fmac_f32 v101, 0xbf52af12, v15 :: v_dual_add_f32 v16, v21, v16
	s_delay_alu instid0(VALU_DEP_2) | instskip(SKIP_1) | instid1(VALU_DEP_2)
	v_dual_fmamk_f32 v21, v14, 0x3f7e222b, v64 :: v_dual_add_f32 v24, v0, v24
	v_fmac_f32_e32 v64, 0xbf7e222b, v14
	v_dual_add_f32 v16, v21, v16 :: v_dual_fmamk_f32 v21, v10, 0x3f6f5d39, v62
	s_delay_alu instid0(VALU_DEP_3) | instskip(SKIP_2) | instid1(VALU_DEP_4)
	v_dual_add_f32 v24, v25, v24 :: v_dual_fmamk_f32 v25, v23, 0x3df6dbef, v69
	v_fmac_f32_e32 v62, 0xbf6f5d39, v10
	v_fma_f32 v10, 0xbeb58ec6, v26, -v70
	v_add_f32_e32 v21, v21, v16
	v_add_f32_e32 v16, v113, v20
	v_dual_add_f32 v24, v25, v24 :: v_dual_fmamk_f32 v25, v26, 0xbeb58ec6, v70
	s_delay_alu instid0(VALU_DEP_3) | instskip(NEXT) | instid1(VALU_DEP_2)
	v_dual_add_f32 v20, v114, v21 :: v_dual_fmac_f32 v103, 0xbe750f2a, v14
	v_add_f32_e32 v21, v25, v24
	v_fma_f32 v24, 0xbf788fa5, v18, -v42
	v_fmamk_f32 v25, v40, 0xbf3f9e67, v71
	v_mul_f32_e32 v42, 0xbf788fa5, v61
	s_delay_alu instid0(VALU_DEP_2) | instskip(SKIP_1) | instid1(VALU_DEP_3)
	v_dual_add_f32 v24, v0, v24 :: v_dual_add_f32 v25, v25, v21
	v_add_f32_e32 v21, v34, v31
	v_fmamk_f32 v31, v30, 0x3e750f2a, v42
	v_fma_f32 v34, 0xbf3f9e67, v23, -v46
	s_delay_alu instid0(VALU_DEP_4) | instskip(NEXT) | instid1(VALU_DEP_4)
	v_dual_add_f32 v24, v43, v24 :: v_dual_fmac_f32 v65, 0xbf52af12, v11
	v_add_f32_e32 v39, v39, v21
	s_delay_alu instid0(VALU_DEP_4) | instskip(NEXT) | instid1(VALU_DEP_3)
	v_add_f32_e32 v21, v31, v20
	v_dual_fmamk_f32 v31, v32, 0xbf788fa5, v37 :: v_dual_add_f32 v20, v34, v24
	v_fma_f32 v24, 0x3f116cb1, v26, -v47
	s_delay_alu instid0(VALU_DEP_4)
	v_add_f32_e32 v34, v35, v39
	v_fma_f32 v35, 0xbeb58ec6, v40, -v44
	v_fmac_f32_e32 v42, 0xbe750f2a, v30
	v_fma_f32 v39, 0xbeb58ec6, v22, -v105
	v_add_f32_e32 v24, v24, v20
	v_dual_add_f32 v20, v31, v25 :: v_dual_add_f32 v25, v1, v72
	v_add_f32_e32 v31, v38, v34
	v_fma_f32 v34, 0xbf3f9e67, v18, -v76
	s_delay_alu instid0(VALU_DEP_4)
	v_add_f32_e32 v24, v35, v24
	v_fma_f32 v11, 0x3f116cb1, v22, -v68
	v_add_f32_e32 v35, v73, v25
	v_add_f32_e32 v25, v27, v31
	v_add_f32_e32 v27, v0, v34
	v_fma_f32 v31, 0x3df6dbef, v22, -v77
	v_add_f32_e32 v24, v36, v24
	v_add_f32_e32 v34, v74, v35
	v_fma_f32 v35, 0xbeb58ec6, v18, -v82
	v_fma_f32 v36, 0x3f62ad3f, v40, -v28
	v_add_f32_e32 v27, v31, v27
	v_fma_f32 v31, 0x3f116cb1, v23, -v80
	v_dual_add_f32 v34, v75, v34 :: v_dual_fmac_f32 v63, 0xbf29c268, v19
	s_delay_alu instid0(VALU_DEP_2) | instskip(SKIP_1) | instid1(VALU_DEP_1)
	v_add_f32_e32 v27, v31, v27
	v_fma_f32 v31, 0xbf788fa5, v26, -v79
	v_dual_add_f32 v34, v78, v34 :: v_dual_add_f32 v27, v31, v27
	v_add_f32_e32 v31, v0, v35
	v_fma_f32 v35, 0xbf3f9e67, v22, -v84
	s_delay_alu instid0(VALU_DEP_3) | instskip(SKIP_2) | instid1(VALU_DEP_4)
	v_add_f32_e32 v28, v45, v34
	v_fma_f32 v34, 0x3f62ad3f, v23, -v41
	v_dual_add_f32 v27, v36, v27 :: v_dual_add_f32 v36, v1, v92
	v_add_f32_e32 v31, v35, v31
	v_fma_f32 v35, 0xbeb58ec6, v32, -v88
	s_delay_alu instid0(VALU_DEP_2) | instskip(SKIP_1) | instid1(VALU_DEP_3)
	v_add_f32_e32 v31, v34, v31
	v_fma_f32 v34, 0x3df6dbef, v26, -v86
	v_add_f32_e32 v27, v35, v27
	v_fma_f32 v35, 0xbf788fa5, v40, -v89
	s_delay_alu instid0(VALU_DEP_3) | instskip(SKIP_3) | instid1(VALU_DEP_4)
	v_add_f32_e32 v31, v34, v31
	v_add_f32_e32 v34, v90, v29
	v_fma_f32 v29, 0x3df6dbef, v18, -v33
	v_fma_f32 v33, 0x3f116cb1, v32, -v91
	v_add_f32_e32 v31, v35, v31
	v_add_f32_e32 v35, v93, v36
	s_delay_alu instid0(VALU_DEP_4)
	v_add_f32_e32 v29, v0, v29
	v_fma_f32 v36, 0xbf788fa5, v22, -v94
	v_fma_f32 v22, 0xbf3f9e67, v26, -v109
	v_add_f32_e32 v33, v33, v31
	v_add_f32_e32 v31, v95, v35
	v_fma_f32 v35, 0xbeb58ec6, v23, -v96
	v_add_f32_e32 v29, v36, v29
	v_add_f32_e32 v36, v1, v101
	;; [unrolled: 1-line block ×4, first 2 shown]
	s_delay_alu instid0(VALU_DEP_4) | instskip(SKIP_1) | instid1(VALU_DEP_3)
	v_add_f32_e32 v29, v35, v29
	v_fma_f32 v35, 0x3f62ad3f, v26, -v98
	v_dual_add_f32 v36, v52, v36 :: v_dual_add_f32 v31, v99, v31
	v_add_f32_e32 v1, v65, v1
	s_delay_alu instid0(VALU_DEP_3) | instskip(SKIP_1) | instid1(VALU_DEP_4)
	v_add_f32_e32 v29, v35, v29
	v_fma_f32 v35, 0x3f116cb1, v40, -v53
	v_add_f32_e32 v38, v103, v36
	v_add_f32_e32 v36, v100, v31
	v_fma_f32 v31, 0x3f116cb1, v18, -v102
	v_fma_f32 v18, 0x3f62ad3f, v18, -v67
	v_add_f32_e32 v29, v35, v29
	v_fma_f32 v35, 0xbf3f9e67, v32, -v104
	v_add_f32_e32 v1, v64, v1
	v_add_f32_e32 v31, v0, v31
	;; [unrolled: 1-line block ×3, first 2 shown]
	s_delay_alu instid0(VALU_DEP_4) | instskip(NEXT) | instid1(VALU_DEP_4)
	v_dual_add_f32 v38, v106, v38 :: v_dual_add_f32 v35, v35, v29
	v_add_f32_e32 v1, v62, v1
	s_delay_alu instid0(VALU_DEP_4)
	v_add_f32_e32 v29, v39, v31
	v_fma_f32 v31, 0xbf788fa5, v23, -v107
	v_add_f32_e32 v0, v11, v0
	v_fma_f32 v11, 0x3df6dbef, v23, -v69
	v_add_f32_e32 v15, v108, v38
	v_add_f32_e32 v19, v63, v1
	v_add_f32_e32 v18, v31, v29
	s_delay_alu instid0(VALU_DEP_4) | instskip(NEXT) | instid1(VALU_DEP_2)
	v_add_f32_e32 v0, v11, v0
	v_dual_add_f32 v1, v111, v15 :: v_dual_add_f32 v14, v22, v18
	v_fma_f32 v18, 0x3df6dbef, v40, -v110
	s_delay_alu instid0(VALU_DEP_3) | instskip(SKIP_2) | instid1(VALU_DEP_4)
	v_add_f32_e32 v0, v10, v0
	v_fma_f32 v10, 0xbf3f9e67, v40, -v71
	v_fma_f32 v22, 0xbf788fa5, v32, -v37
	v_add_f32_e32 v11, v18, v14
	v_mul_i32_i24_e32 v18, 0x68, v58
	v_fma_f32 v14, 0x3f62ad3f, v32, -v112
	v_add_f32_e32 v10, v10, v0
	s_delay_alu instid0(VALU_DEP_3) | instskip(NEXT) | instid1(VALU_DEP_3)
	v_add3_u32 v18, 0, v18, v59
	v_add_f32_e32 v0, v14, v11
	v_add_f32_e32 v11, v42, v19
	s_delay_alu instid0(VALU_DEP_4)
	v_add_f32_e32 v10, v22, v10
	ds_store_2addr_b64 v18, v[4:5], v[20:21] offset1:1
	ds_store_2addr_b64 v18, v[16:17], v[12:13] offset0:2 offset1:3
	ds_store_2addr_b64 v18, v[8:9], v[6:7] offset0:4 offset1:5
	;; [unrolled: 1-line block ×5, first 2 shown]
	ds_store_b64 v18, v[10:11] offset:96
.LBB0_15:
	s_wait_alu 0xfffe
	s_or_b32 exec_lo, exec_lo, s1
	v_dual_mov_b32 v8, 0 :: v_dual_lshlrev_b32 v7, 2, v54
	global_wb scope:SCOPE_SE
	s_wait_dscnt 0x0
	s_barrier_signal -1
	s_barrier_wait -1
	global_inv scope:SCOPE_SE
	v_lshlrev_b64_e32 v[0:1], 3, v[7:8]
	s_delay_alu instid0(VALU_DEP_1) | instskip(SKIP_1) | instid1(VALU_DEP_2)
	v_add_co_u32 v9, s0, s8, v0
	s_wait_alu 0xf1ff
	v_add_co_ci_u32_e64 v10, s0, s9, v1, s0
	s_clause 0x1
	global_load_b128 v[24:27], v[9:10], off
	global_load_b128 v[28:31], v[9:10], off offset:16
	v_add_nc_u32_e32 v18, 26, v54
	v_add_nc_u32_e32 v20, 39, v54
	;; [unrolled: 1-line block ×3, first 2 shown]
	s_delay_alu instid0(VALU_DEP_3) | instskip(NEXT) | instid1(VALU_DEP_3)
	v_and_b32_e32 v0, 0xff, v18
	v_and_b32_e32 v1, 0xff, v20
	s_delay_alu instid0(VALU_DEP_3) | instskip(NEXT) | instid1(VALU_DEP_3)
	v_and_b32_e32 v2, 0xff, v19
	v_mul_lo_u16 v0, 0x4f, v0
	s_delay_alu instid0(VALU_DEP_3) | instskip(NEXT) | instid1(VALU_DEP_3)
	v_mul_lo_u16 v1, 0x4f, v1
	v_mul_lo_u16 v2, 0x4f, v2
	s_delay_alu instid0(VALU_DEP_3) | instskip(NEXT) | instid1(VALU_DEP_3)
	v_lshrrev_b16 v0, 10, v0
	v_lshrrev_b16 v1, 10, v1
	s_delay_alu instid0(VALU_DEP_2) | instskip(NEXT) | instid1(VALU_DEP_2)
	v_mul_lo_u16 v0, v0, 13
	v_mul_lo_u16 v1, v1, 13
	s_delay_alu instid0(VALU_DEP_2) | instskip(NEXT) | instid1(VALU_DEP_1)
	v_sub_nc_u16 v0, v18, v0
	v_and_b32_e32 v21, 0xff, v0
	s_delay_alu instid0(VALU_DEP_1)
	v_lshlrev_b32_e32 v0, 5, v21
	s_clause 0x1
	global_load_b128 v[32:35], v0, s[8:9]
	global_load_b128 v[36:39], v0, s[8:9] offset:16
	v_sub_nc_u16 v0, v20, v1
	v_lshrrev_b16 v1, 10, v2
	s_delay_alu instid0(VALU_DEP_2) | instskip(NEXT) | instid1(VALU_DEP_2)
	v_and_b32_e32 v22, 0xff, v0
	v_mul_lo_u16 v0, v1, 13
	s_delay_alu instid0(VALU_DEP_2) | instskip(NEXT) | instid1(VALU_DEP_2)
	v_lshlrev_b32_e32 v1, 5, v22
	v_sub_nc_u16 v0, v19, v0
	s_clause 0x1
	global_load_b128 v[40:43], v1, s[8:9]
	global_load_b128 v[44:47], v1, s[8:9] offset:16
	v_and_b32_e32 v23, 0xff, v0
	s_delay_alu instid0(VALU_DEP_1)
	v_lshlrev_b32_e32 v0, 5, v23
	s_clause 0x1
	global_load_b128 v[61:64], v0, s[8:9]
	global_load_b128 v[65:68], v0, s[8:9] offset:16
	ds_load_2addr_b64 v[0:3], v56 offset0:52 offset1:65
	ds_load_2addr_b64 v[69:72], v56 offset0:130 offset1:143
	;; [unrolled: 1-line block ×5, first 2 shown]
	ds_load_b64 v[11:12], v60
	ds_load_2addr_b64 v[85:88], v56 offset0:208 offset1:221
	ds_load_2addr_b64 v[4:7], v56 offset0:26 offset1:39
	v_lshlrev_b32_e32 v13, 3, v58
	s_wait_loadcnt_dscnt 0x604
	v_dual_mul_f32 v15, v3, v25 :: v_dual_mul_f32 v114, v80, v31
	v_mul_f32_e32 v16, v2, v25
	v_mul_f32_e32 v105, v70, v27
	;; [unrolled: 1-line block ×3, first 2 shown]
	v_dual_mul_f32 v108, v75, v29 :: v_dual_mul_f32 v109, v78, v31
	v_add3_u32 v17, 0, v13, v59
	v_dual_mul_f32 v107, v76, v29 :: v_dual_mul_f32 v110, v77, v31
	s_wait_dscnt 0x3
	v_mul_f32_e32 v111, v82, v25
	v_dual_fmac_f32 v15, v2, v24 :: v_dual_fmac_f32 v114, v79, v30
	v_fma_f32 v2, v3, v24, -v16
	v_fma_f32 v3, v70, v26, -v106
	v_fmac_f32_e32 v109, v77, v30
	v_fmac_f32_e32 v105, v69, v26
	v_fma_f32 v69, v76, v28, -v108
	ds_load_2addr_b64 v[89:92], v56 offset0:156 offset1:169
	ds_load_2addr_b64 v[93:96], v57 offset0:30 offset1:43
	;; [unrolled: 1-line block ×4, first 2 shown]
	ds_load_b64 v[13:14], v17
	ds_load_b64 v[52:53], v56 offset:2496
	v_dual_mul_f32 v25, v81, v25 :: v_dual_mul_f32 v112, v72, v27
	s_wait_dscnt 0x7
	v_mul_f32_e32 v113, v86, v29
	v_mul_f32_e32 v29, v85, v29
	v_fma_f32 v70, v78, v30, -v110
	v_mul_f32_e32 v27, v71, v27
	v_mul_f32_e32 v31, v79, v31
	v_fmac_f32_e32 v107, v75, v28
	v_dual_add_f32 v78, v3, v69 :: v_dual_fmac_f32 v111, v81, v24
	v_fma_f32 v16, v82, v24, -v25
	v_fmac_f32_e32 v112, v71, v26
	v_fma_f32 v24, v72, v26, -v27
	v_fmac_f32_e32 v113, v85, v28
	v_fma_f32 v29, v86, v28, -v29
	v_sub_f32_e32 v86, v3, v2
	v_sub_f32_e32 v82, v70, v69
	v_fma_f32 v71, v80, v30, -v31
	v_add_f32_e32 v30, v15, v109
	v_dual_add_f32 v25, v11, v15 :: v_dual_sub_f32 v72, v2, v70
	s_delay_alu instid0(VALU_DEP_3)
	v_dual_sub_f32 v79, v15, v109 :: v_dual_sub_f32 v106, v16, v71
	s_wait_loadcnt 0x5
	v_mul_f32_e32 v81, v84, v33
	v_mul_f32_e32 v33, v83, v33
	v_add_f32_e32 v85, v2, v70
	v_sub_f32_e32 v75, v3, v69
	v_lshlrev_b32_e32 v23, 3, v23
	v_fmac_f32_e32 v81, v83, v32
	v_fma_f32 v83, v84, v32, -v33
	v_sub_f32_e32 v32, v69, v70
	v_dual_add_f32 v26, v105, v107 :: v_dual_sub_f32 v27, v15, v105
	v_sub_f32_e32 v28, v109, v107
	v_dual_sub_f32 v31, v105, v15 :: v_dual_sub_f32 v76, v107, v109
	v_dual_add_f32 v77, v12, v2 :: v_dual_sub_f32 v80, v105, v107
	s_delay_alu instid0(VALU_DEP_3)
	v_dual_sub_f32 v15, v2, v3 :: v_dual_add_f32 v108, v27, v28
	v_fma_f32 v2, -0.5, v26, v11
	v_dual_sub_f32 v26, v111, v112 :: v_dual_sub_f32 v27, v114, v113
	s_wait_dscnt 0x1
	v_dual_add_f32 v33, v13, v111 :: v_dual_add_f32 v84, v112, v113
	v_add_f32_e32 v25, v25, v105
	v_fma_f32 v11, -0.5, v30, v11
	v_add_f32_e32 v76, v31, v76
	v_add_f32_e32 v28, v77, v3
	;; [unrolled: 1-line block ×3, first 2 shown]
	v_fma_f32 v3, -0.5, v78, v12
	v_dual_sub_f32 v31, v112, v111 :: v_dual_fmac_f32 v12, -0.5, v85
	v_dual_add_f32 v77, v15, v82 :: v_dual_add_f32 v110, v26, v27
	v_sub_f32_e32 v78, v113, v114
	v_add_f32_e32 v82, v14, v16
	v_dual_add_f32 v85, v86, v32 :: v_dual_add_f32 v32, v24, v29
	v_sub_f32_e32 v26, v16, v24
	s_delay_alu instid0(VALU_DEP_4)
	v_add_f32_e32 v78, v31, v78
	v_sub_f32_e32 v27, v71, v29
	v_dual_sub_f32 v105, v24, v29 :: v_dual_sub_f32 v86, v111, v114
	v_fma_f32 v15, -0.5, v84, v13
	v_fma_f32 v13, -0.5, v30, v13
	v_dual_add_f32 v31, v82, v24 :: v_dual_add_f32 v30, v16, v71
	v_sub_f32_e32 v24, v24, v16
	v_fma_f32 v16, -0.5, v32, v14
	v_sub_f32_e32 v32, v29, v71
	v_dual_add_f32 v33, v33, v112 :: v_dual_sub_f32 v82, v112, v113
	v_add_f32_e32 v84, v26, v27
	v_dual_mul_f32 v112, v90, v35 :: v_dual_fmamk_f32 v27, v80, 0xbf737871, v12
	v_mul_f32_e32 v26, v89, v35
	v_dual_fmac_f32 v14, -0.5, v30 :: v_dual_add_f32 v111, v24, v32
	s_delay_alu instid0(VALU_DEP_3) | instskip(SKIP_1) | instid1(VALU_DEP_4)
	v_fmac_f32_e32 v112, v89, v34
	v_add_f32_e32 v32, v25, v107
	v_fma_f32 v89, v90, v34, -v26
	v_fmamk_f32 v26, v75, 0x3f737871, v11
	v_dual_fmac_f32 v11, 0xbf737871, v75 :: v_dual_add_f32 v34, v28, v69
	s_wait_loadcnt 0x4
	v_mul_f32_e32 v69, v88, v37
	v_mul_f32_e32 v30, v87, v37
	v_fmamk_f32 v24, v72, 0xbf737871, v2
	v_dual_fmac_f32 v2, 0x3f737871, v72 :: v_dual_add_f32 v35, v33, v113
	s_delay_alu instid0(VALU_DEP_4) | instskip(NEXT) | instid1(VALU_DEP_4)
	v_fmac_f32_e32 v69, v87, v36
	v_fma_f32 v87, v88, v36, -v30
	v_fmamk_f32 v30, v105, 0x3f737871, v13
	v_fmac_f32_e32 v13, 0xbf737871, v105
	v_add_f32_e32 v36, v31, v29
	v_mul_f32_e32 v88, v94, v39
	v_mul_f32_e32 v33, v93, v39
	v_fmamk_f32 v25, v79, 0x3f737871, v3
	v_fmac_f32_e32 v3, 0xbf737871, v79
	s_wait_loadcnt 0x3
	v_dual_fmac_f32 v12, 0x3f737871, v80 :: v_dual_mul_f32 v37, v98, v41
	v_dual_fmamk_f32 v28, v106, 0xbf737871, v15 :: v_dual_mul_f32 v39, v92, v43
	v_fmac_f32_e32 v15, 0x3f737871, v106
	v_fmamk_f32 v29, v86, 0x3f737871, v16
	v_fmac_f32_e32 v16, 0xbf737871, v86
	v_fmamk_f32 v31, v82, 0xbf737871, v14
	v_fmac_f32_e32 v14, 0x3f737871, v82
	v_fma_f32 v90, v94, v38, -v33
	v_dual_add_f32 v32, v32, v109 :: v_dual_add_f32 v33, v34, v70
	v_fmac_f32_e32 v88, v93, v38
	v_dual_mul_f32 v38, v97, v41 :: v_dual_mul_f32 v41, v91, v43
	s_wait_loadcnt 0x2
	v_mul_f32_e32 v93, v102, v45
	v_mul_f32_e32 v43, v101, v45
	s_wait_loadcnt 0x1
	v_mul_f32_e32 v45, v100, v62
	v_dual_mul_f32 v70, v96, v47 :: v_dual_fmac_f32 v11, 0x3f167918, v72
	v_dual_add_f32 v34, v35, v114 :: v_dual_add_f32 v35, v36, v71
	v_dual_mul_f32 v71, v74, v64 :: v_dual_mul_f32 v36, v95, v47
	v_fmac_f32_e32 v25, 0x3f167918, v80
	v_dual_mul_f32 v47, v99, v62 :: v_dual_fmac_f32 v26, 0xbf167918, v72
	v_dual_fmac_f32 v39, v91, v42 :: v_dual_mul_f32 v62, v73, v64
	s_wait_loadcnt 0x0
	v_dual_fmac_f32 v27, 0x3f167918, v79 :: v_dual_mul_f32 v64, v104, v66
	v_fmac_f32_e32 v93, v101, v44
	s_wait_dscnt 0x0
	v_dual_fmac_f32 v13, 0x3f167918, v106 :: v_dual_mul_f32 v72, v53, v68
	v_dual_fmac_f32 v24, 0xbf167918, v75 :: v_dual_fmac_f32 v3, 0xbf167918, v80
	v_dual_fmac_f32 v2, 0x3f167918, v75 :: v_dual_fmac_f32 v15, 0x3f167918, v105
	v_dual_fmac_f32 v12, 0xbf167918, v79 :: v_dual_fmac_f32 v37, v97, v40
	v_dual_fmac_f32 v28, 0xbf167918, v105 :: v_dual_fmac_f32 v71, v73, v63
	v_dual_mul_f32 v66, v103, v66 :: v_dual_fmac_f32 v11, 0x3e9e377a, v76
	v_dual_fmac_f32 v30, 0xbf167918, v106 :: v_dual_fmac_f32 v45, v99, v61
	v_dual_fmac_f32 v29, 0x3f167918, v82 :: v_dual_mul_f32 v68, v52, v68
	v_fmac_f32_e32 v16, 0xbf167918, v82
	v_dual_fmac_f32 v31, 0x3f167918, v86 :: v_dual_fmac_f32 v64, v103, v65
	v_fmac_f32_e32 v14, 0xbf167918, v86
	v_fma_f32 v38, v98, v40, -v38
	v_fma_f32 v40, v92, v42, -v41
	;; [unrolled: 1-line block ×3, first 2 shown]
	v_dual_sub_f32 v43, v88, v69 :: v_dual_fmac_f32 v70, v95, v46
	v_dual_fmac_f32 v25, 0x3e9e377a, v77 :: v_dual_fmac_f32 v72, v52, v67
	v_fmac_f32_e32 v3, 0x3e9e377a, v77
	v_fma_f32 v79, v96, v46, -v36
	v_fma_f32 v80, v100, v61, -v47
	;; [unrolled: 1-line block ×5, first 2 shown]
	v_dual_fmac_f32 v2, 0x3e9e377a, v108 :: v_dual_fmac_f32 v15, 0x3e9e377a, v110
	v_dual_fmac_f32 v26, 0x3e9e377a, v76 :: v_dual_fmac_f32 v13, 0x3e9e377a, v78
	;; [unrolled: 1-line block ×3, first 2 shown]
	v_dual_fmac_f32 v30, 0x3e9e377a, v78 :: v_dual_sub_f32 v47, v69, v88
	v_dual_fmac_f32 v14, 0x3e9e377a, v111 :: v_dual_sub_f32 v67, v81, v88
	v_dual_add_f32 v36, v4, v81 :: v_dual_sub_f32 v63, v90, v87
	v_dual_add_f32 v41, v112, v69 :: v_dual_fmac_f32 v16, 0x3e9e377a, v84
	v_add_f32_e32 v53, v89, v87
	v_dual_sub_f32 v42, v81, v112 :: v_dual_add_f32 v65, v83, v90
	v_dual_add_f32 v44, v81, v88 :: v_dual_sub_f32 v77, v87, v90
	v_sub_f32_e32 v46, v112, v81
	v_dual_add_f32 v52, v5, v83 :: v_dual_add_f32 v81, v39, v93
	v_dual_sub_f32 v68, v112, v69 :: v_dual_add_f32 v91, v37, v70
	v_dual_sub_f32 v76, v89, v83 :: v_dual_add_f32 v95, v7, v38
	v_dual_add_f32 v78, v6, v37 :: v_dual_sub_f32 v97, v37, v70
	v_dual_sub_f32 v94, v93, v70 :: v_dual_add_f32 v105, v71, v64
	v_dual_add_f32 v96, v40, v75 :: v_dual_sub_f32 v107, v73, v74
	v_add_f32_e32 v110, v45, v72
	v_dual_fmac_f32 v24, 0x3e9e377a, v108 :: v_dual_fmac_f32 v27, 0x3e9e377a, v85
	v_dual_fmac_f32 v12, 0x3e9e377a, v85 :: v_dual_fmac_f32 v29, 0x3e9e377a, v84
	v_sub_f32_e32 v62, v83, v90
	v_dual_sub_f32 v66, v89, v87 :: v_dual_sub_f32 v61, v83, v89
	v_sub_f32_e32 v83, v38, v79
	v_dual_sub_f32 v84, v40, v75 :: v_dual_sub_f32 v99, v38, v40
	v_dual_sub_f32 v85, v37, v39 :: v_dual_sub_f32 v86, v70, v93
	v_sub_f32_e32 v103, v75, v79
	v_dual_sub_f32 v92, v39, v37 :: v_dual_add_f32 v101, v38, v79
	v_dual_sub_f32 v98, v39, v93 :: v_dual_sub_f32 v109, v72, v64
	v_dual_sub_f32 v102, v40, v38 :: v_dual_sub_f32 v111, v71, v45
	v_dual_add_f32 v104, v0, v45 :: v_dual_add_f32 v115, v73, v74
	v_dual_sub_f32 v106, v80, v82 :: v_dual_add_f32 v117, v46, v47
	v_sub_f32_e32 v108, v45, v71
	v_sub_f32_e32 v116, v45, v72
	v_add_f32_e32 v45, v36, v112
	v_fma_f32 v36, -0.5, v41, v4
	v_add_f32_e32 v112, v42, v43
	v_fma_f32 v4, -0.5, v44, v4
	;; [unrolled: 2-line block ×3, first 2 shown]
	v_fma_f32 v5, -0.5, v65, v5
	v_dual_add_f32 v46, v78, v39 :: v_dual_add_f32 v47, v95, v40
	v_fma_f32 v38, -0.5, v81, v6
	v_fma_f32 v6, -0.5, v91, v6
	;; [unrolled: 1-line block ×5, first 2 shown]
	v_dual_sub_f32 v100, v79, v75 :: v_dual_sub_f32 v113, v64, v72
	v_dual_add_f32 v114, v1, v80 :: v_dual_fmac_f32 v7, -0.5, v101
	v_dual_add_f32 v89, v61, v63 :: v_dual_add_f32 v76, v76, v77
	v_add_f32_e32 v77, v85, v86
	v_dual_add_f32 v61, v104, v71 :: v_dual_fmamk_f32 v42, v62, 0xbf737871, v36
	v_add_f32_e32 v86, v108, v109
	v_fma_f32 v41, -0.5, v115, v1
	v_dual_add_f32 v65, v45, v69 :: v_dual_fmac_f32 v36, 0x3f737871, v62
	v_fmamk_f32 v44, v66, 0x3f737871, v4
	v_dual_fmac_f32 v4, 0xbf737871, v66 :: v_dual_add_f32 v69, v43, v87
	v_fmamk_f32 v43, v67, 0x3f737871, v37
	v_fmac_f32_e32 v37, 0xbf737871, v67
	v_fmamk_f32 v45, v68, 0xbf737871, v5
	v_fmac_f32_e32 v5, 0x3f737871, v68
	v_dual_add_f32 v87, v46, v93 :: v_dual_fmamk_f32 v52, v84, 0x3f737871, v6
	v_dual_fmac_f32 v6, 0xbf737871, v84 :: v_dual_add_f32 v75, v47, v75
	v_fmamk_f32 v47, v97, 0x3f737871, v39
	v_fmac_f32_e32 v39, 0xbf737871, v97
	v_fmamk_f32 v63, v107, 0x3f737871, v0
	v_fmac_f32_e32 v0, 0xbf737871, v107
	v_dual_add_f32 v85, v102, v103 :: v_dual_fmamk_f32 v46, v83, 0xbf737871, v38
	v_fmac_f32_e32 v38, 0x3f737871, v83
	v_fmamk_f32 v53, v98, 0xbf737871, v7
	v_fmac_f32_e32 v7, 0x3f737871, v98
	v_dual_add_f32 v91, v61, v64 :: v_dual_fmac_f32 v42, 0xbf167918, v66
	v_fmamk_f32 v61, v106, 0xbf737871, v40
	v_dual_fmac_f32 v44, 0xbf167918, v62 :: v_dual_fmac_f32 v37, 0xbf167918, v68
	v_dual_fmac_f32 v4, 0x3f167918, v62 :: v_dual_fmac_f32 v43, 0x3f167918, v68
	;; [unrolled: 1-line block ×4, first 2 shown]
	v_dual_add_f32 v67, v87, v70 :: v_dual_fmac_f32 v52, 0xbf167918, v83
	v_add_f32_e32 v68, v75, v79
	v_add_f32_e32 v70, v111, v113
	v_dual_fmac_f32 v0, 0x3f167918, v106 :: v_dual_sub_f32 v71, v71, v64
	v_fmamk_f32 v62, v116, 0x3f737871, v41
	v_add_f32_e32 v75, v80, v82
	v_dual_add_f32 v65, v65, v88 :: v_dual_fmac_f32 v36, 0x3f167918, v66
	v_dual_add_f32 v66, v69, v90 :: v_dual_add_f32 v69, v91, v72
	v_fmac_f32_e32 v44, 0x3e9e377a, v117
	v_add_f32_e32 v72, v114, v73
	v_dual_fmac_f32 v0, 0x3e9e377a, v70 :: v_dual_fmac_f32 v1, -0.5, v75
	v_sub_f32_e32 v75, v82, v74
	v_fmac_f32_e32 v63, 0xbf167918, v106
	v_fmac_f32_e32 v39, 0xbf167918, v98
	v_fmac_f32_e32 v7, 0xbf167918, v97
	v_fmac_f32_e32 v62, 0x3f167918, v71
	v_fmac_f32_e32 v40, 0x3f737871, v106
	v_fmac_f32_e32 v63, 0x3e9e377a, v70
	v_add_f32_e32 v70, v72, v74
	v_dual_sub_f32 v72, v80, v73 :: v_dual_fmac_f32 v61, 0xbf167918, v107
	v_dual_sub_f32 v74, v74, v82 :: v_dual_fmac_f32 v41, 0xbf737871, v116
	v_dual_fmamk_f32 v64, v71, 0xbf737871, v1 :: v_dual_sub_f32 v73, v73, v80
	v_fmac_f32_e32 v1, 0x3f737871, v71
	v_dual_add_f32 v78, v92, v94 :: v_dual_lshlrev_b32 v21, 3, v21
	v_dual_add_f32 v81, v99, v100 :: v_dual_fmac_f32 v6, 0x3f167918, v83
	v_fmac_f32_e32 v47, 0x3f167918, v98
	global_wb scope:SCOPE_SE
	s_barrier_signal -1
	s_barrier_wait -1
	global_inv scope:SCOPE_SE
	ds_store_2addr_b64 v56, v[26:27], v[11:12] offset0:26 offset1:39
	v_lshlrev_b32_e32 v11, 3, v22
	v_dual_fmac_f32 v53, 0x3f167918, v97 :: v_dual_fmac_f32 v40, 0x3f167918, v107
	v_add_f32_e32 v72, v72, v75
	ds_store_2addr_b64 v56, v[2:3], v[34:35] offset0:52 offset1:65
	v_add3_u32 v2, 0, v23, v59
	v_dual_fmac_f32 v42, 0x3e9e377a, v112 :: v_dual_fmac_f32 v43, 0x3e9e377a, v89
	v_fmac_f32_e32 v41, 0xbf167918, v71
	v_dual_fmac_f32 v64, 0x3f167918, v116 :: v_dual_add_f32 v71, v73, v74
	v_fmac_f32_e32 v1, 0xbf167918, v116
	v_add3_u32 v3, 0, v21, v59
	v_dual_fmac_f32 v4, 0x3e9e377a, v117 :: v_dual_fmac_f32 v45, 0x3e9e377a, v76
	v_dual_fmac_f32 v5, 0x3e9e377a, v76 :: v_dual_fmac_f32 v46, 0x3e9e377a, v77
	;; [unrolled: 1-line block ×3, first 2 shown]
	v_add3_u32 v11, 0, v11, v59
	v_dual_fmac_f32 v6, 0x3e9e377a, v78 :: v_dual_fmac_f32 v39, 0x3e9e377a, v81
	v_dual_fmac_f32 v53, 0x3e9e377a, v85 :: v_dual_fmac_f32 v40, 0x3e9e377a, v86
	v_dual_fmac_f32 v7, 0x3e9e377a, v85 :: v_dual_add_f32 v70, v70, v82
	v_dual_fmac_f32 v38, 0x3e9e377a, v77 :: v_dual_fmac_f32 v61, 0x3e9e377a, v86
	v_fmac_f32_e32 v62, 0x3e9e377a, v72
	v_add_nc_u32_e32 v12, 0x800, v2
	v_dual_fmac_f32 v41, 0x3e9e377a, v72 :: v_dual_fmac_f32 v64, 0x3e9e377a, v71
	v_fmac_f32_e32 v1, 0x3e9e377a, v71
	ds_store_2addr_b64 v56, v[32:33], v[24:25] offset1:13
	ds_store_2addr_b64 v56, v[28:29], v[30:31] offset0:78 offset1:91
	ds_store_2addr_b64 v56, v[13:14], v[15:16] offset0:104 offset1:117
	ds_store_2addr_b64 v3, v[65:66], v[42:43] offset0:130 offset1:143
	ds_store_2addr_b64 v3, v[44:45], v[4:5] offset0:156 offset1:169
	ds_store_2addr_b64 v11, v[67:68], v[46:47] offset0:195 offset1:208
	ds_store_2addr_b64 v11, v[52:53], v[6:7] offset0:221 offset1:234
	ds_store_2addr_b64 v12, v[69:70], v[61:62] offset0:4 offset1:17
	ds_store_2addr_b64 v12, v[63:64], v[0:1] offset0:30 offset1:43
	v_dual_fmac_f32 v36, 0x3e9e377a, v112 :: v_dual_lshlrev_b32 v7, 2, v58
	v_fmac_f32_e32 v37, 0x3e9e377a, v89
	ds_store_b64 v3, v[36:37] offset:1456
	ds_store_b64 v11, v[38:39] offset:1976
	;; [unrolled: 1-line block ×3, first 2 shown]
	v_lshlrev_b64_e32 v[0:1], 3, v[7:8]
	global_wb scope:SCOPE_SE
	s_wait_dscnt 0x0
	s_barrier_signal -1
	s_barrier_wait -1
	global_inv scope:SCOPE_SE
	global_load_b128 v[12:15], v[9:10], off offset:416
	v_add_co_u32 v0, s0, s8, v0
	s_wait_alu 0xf1ff
	v_add_co_ci_u32_e64 v1, s0, s9, v1, s0
	s_clause 0x2
	global_load_b128 v[21:24], v[9:10], off offset:432
	global_load_b128 v[25:28], v[0:1], off offset:416
	;; [unrolled: 1-line block ×3, first 2 shown]
	v_lshlrev_b32_e32 v7, 2, v18
	s_delay_alu instid0(VALU_DEP_1) | instskip(SKIP_1) | instid1(VALU_DEP_2)
	v_lshlrev_b64_e32 v[2:3], 3, v[7:8]
	v_lshlrev_b32_e32 v7, 2, v20
	v_add_co_u32 v2, s0, s8, v2
	s_wait_alu 0xf1ff
	s_delay_alu instid0(VALU_DEP_3) | instskip(NEXT) | instid1(VALU_DEP_3)
	v_add_co_ci_u32_e64 v3, s0, s9, v3, s0
	v_lshlrev_b64_e32 v[0:1], 3, v[7:8]
	s_clause 0x1
	global_load_b128 v[33:36], v[2:3], off offset:416
	global_load_b128 v[37:40], v[2:3], off offset:432
	v_lshlrev_b32_e32 v7, 2, v19
	v_add_co_u32 v0, s0, s8, v0
	s_wait_alu 0xf1ff
	v_add_co_ci_u32_e64 v1, s0, s9, v1, s0
	s_delay_alu instid0(VALU_DEP_3)
	v_lshlrev_b64_e32 v[2:3], 3, v[7:8]
	s_clause 0x1
	global_load_b128 v[41:44], v[0:1], off offset:416
	global_load_b128 v[61:64], v[0:1], off offset:432
	v_add_co_u32 v0, s0, s8, v2
	s_wait_alu 0xf1ff
	v_add_co_ci_u32_e64 v1, s0, s9, v3, s0
	s_clause 0x1
	global_load_b128 v[65:68], v[0:1], off offset:416
	global_load_b128 v[69:72], v[0:1], off offset:432
	ds_load_2addr_b64 v[0:3], v56 offset0:52 offset1:65
	ds_load_2addr_b64 v[73:76], v56 offset0:130 offset1:143
	;; [unrolled: 1-line block ×5, first 2 shown]
	ds_load_b64 v[10:11], v60
	ds_load_2addr_b64 v[89:92], v56 offset0:208 offset1:221
	ds_load_2addr_b64 v[4:7], v56 offset0:26 offset1:39
	;; [unrolled: 1-line block ×6, first 2 shown]
	ds_load_b64 v[8:9], v17
	ds_load_b64 v[19:20], v56 offset:2496
	global_wb scope:SCOPE_SE
	s_wait_loadcnt_dscnt 0x0
	s_barrier_signal -1
	s_barrier_wait -1
	global_inv scope:SCOPE_SE
	v_mul_f32_e32 v45, v13, v3
	v_mul_f32_e32 v13, v13, v2
	;; [unrolled: 1-line block ×11, first 2 shown]
	v_dual_mul_f32 v28, v75, v28 :: v_dual_mul_f32 v53, v90, v30
	v_fmac_f32_e32 v52, v81, v23
	v_mul_f32_e32 v30, v89, v30
	v_mul_f32_e32 v58, v84, v32
	v_dual_mul_f32 v32, v83, v32 :: v_dual_fmac_f32 v45, v12, v2
	v_fmac_f32_e32 v26, v75, v27
	v_fmac_f32_e32 v46, v14, v73
	;; [unrolled: 1-line block ×3, first 2 shown]
	v_fma_f32 v24, v86, v25, -v24
	v_dual_fmac_f32 v58, v83, v31 :: v_dual_fmac_f32 v53, v89, v29
	v_mul_f32_e32 v59, v88, v34
	v_mul_f32_e32 v34, v87, v34
	;; [unrolled: 1-line block ×3, first 2 shown]
	v_dual_mul_f32 v36, v93, v36 :: v_dual_mul_f32 v109, v92, v38
	v_mul_f32_e32 v38, v91, v38
	v_fma_f32 v110, v12, v3, -v13
	v_fma_f32 v73, v14, v74, -v15
	v_mul_f32_e32 v74, v98, v40
	v_mul_f32_e32 v13, v97, v40
	v_fmac_f32_e32 v47, v21, v79
	v_mul_f32_e32 v111, v102, v42
	v_dual_mul_f32 v14, v101, v42 :: v_dual_mul_f32 v79, v96, v44
	v_fma_f32 v40, v21, v80, -v16
	v_fma_f32 v42, v82, v23, -v18
	v_dual_mul_f32 v15, v95, v44 :: v_dual_mul_f32 v16, v105, v62
	v_mul_f32_e32 v80, v106, v62
	v_fma_f32 v23, v76, v27, -v28
	v_mul_f32_e32 v62, v100, v64
	v_mul_f32_e32 v21, v99, v64
	v_dual_mul_f32 v27, v103, v66 :: v_dual_mul_f32 v2, v78, v68
	v_dual_mul_f32 v25, v77, v68 :: v_dual_mul_f32 v28, v107, v70
	v_mul_f32_e32 v3, v108, v70
	v_fma_f32 v44, v84, v31, -v32
	v_mul_f32_e32 v18, v20, v72
	v_dual_mul_f32 v31, v19, v72 :: v_dual_fmac_f32 v60, v93, v35
	v_fma_f32 v32, v90, v29, -v30
	v_fma_f32 v29, v88, v33, -v34
	;; [unrolled: 1-line block ×4, first 2 shown]
	v_dual_mul_f32 v12, v104, v66 :: v_dual_fmac_f32 v59, v87, v33
	v_dual_fmac_f32 v74, v97, v39 :: v_dual_fmac_f32 v109, v91, v37
	v_fmac_f32_e32 v2, v77, v67
	v_fma_f32 v64, v98, v39, -v13
	v_dual_fmac_f32 v111, v101, v41 :: v_dual_fmac_f32 v62, v99, v63
	v_fma_f32 v66, v102, v41, -v14
	v_dual_fmac_f32 v79, v95, v43 :: v_dual_fmac_f32 v80, v105, v61
	v_fma_f32 v68, v96, v43, -v15
	v_fma_f32 v61, v106, v61, -v16
	;; [unrolled: 1-line block ×5, first 2 shown]
	v_fmac_f32_e32 v3, v107, v69
	v_fma_f32 v16, v108, v69, -v28
	v_dual_fmac_f32 v18, v19, v71 :: v_dual_add_f32 v19, v10, v45
	v_fma_f32 v13, v20, v71, -v31
	v_dual_add_f32 v20, v46, v47 :: v_dual_sub_f32 v43, v73, v40
	v_dual_sub_f32 v28, v46, v45 :: v_dual_sub_f32 v25, v52, v47
	v_add_f32_e32 v34, v73, v40
	v_dual_add_f32 v27, v45, v52 :: v_dual_add_f32 v38, v110, v42
	v_dual_sub_f32 v31, v47, v52 :: v_dual_sub_f32 v76, v58, v53
	v_dual_add_f32 v33, v11, v110 :: v_dual_add_f32 v82, v9, v24
	v_dual_sub_f32 v35, v110, v73 :: v_dual_sub_f32 v86, v24, v23
	v_dual_sub_f32 v39, v73, v110 :: v_dual_add_f32 v88, v24, v44
	v_sub_f32_e32 v67, v40, v42
	v_dual_add_f32 v69, v8, v22 :: v_dual_sub_f32 v92, v29, v64
	v_dual_sub_f32 v71, v24, v44 :: v_dual_sub_f32 v84, v22, v58
	v_dual_sub_f32 v75, v22, v26 :: v_dual_sub_f32 v94, v59, v60
	v_dual_sub_f32 v81, v53, v58 :: v_dual_add_f32 v100, v30, v36
	v_sub_f32_e32 v24, v23, v24
	v_dual_sub_f32 v89, v32, v44 :: v_dual_add_f32 v106, v6, v111
	v_add_f32_e32 v99, v5, v29
	v_dual_fmac_f32 v12, v103, v65 :: v_dual_sub_f32 v41, v110, v42
	v_dual_sub_f32 v21, v45, v46 :: v_dual_add_f32 v70, v26, v53
	v_dual_sub_f32 v45, v45, v52 :: v_dual_sub_f32 v78, v26, v22
	v_dual_sub_f32 v65, v46, v47 :: v_dual_sub_f32 v72, v23, v32
	v_dual_sub_f32 v37, v42, v40 :: v_dual_add_f32 v90, v4, v59
	v_dual_add_f32 v77, v22, v58 :: v_dual_add_f32 v104, v29, v64
	v_dual_add_f32 v83, v23, v32 :: v_dual_sub_f32 v98, v109, v74
	v_dual_sub_f32 v85, v26, v53 :: v_dual_add_f32 v96, v59, v74
	v_dual_sub_f32 v87, v44, v32 :: v_dual_sub_f32 v102, v29, v30
	v_dual_add_f32 v91, v60, v109 :: v_dual_sub_f32 v108, v66, v63
	v_dual_sub_f32 v93, v30, v36 :: v_dual_add_f32 v46, v19, v46
	v_dual_sub_f32 v95, v74, v109 :: v_dual_add_f32 v112, v28, v31
	;; [unrolled: 1-line block ×5, first 2 shown]
	v_sub_f32_e32 v105, v36, v64
	v_add_f32_e32 v107, v79, v80
	v_fma_f32 v19, -0.5, v20, v10
	v_fma_f32 v10, -0.5, v27, v10
	;; [unrolled: 1-line block ×3, first 2 shown]
	v_fmac_f32_e32 v11, -0.5, v38
	v_dual_add_f32 v69, v75, v76 :: v_dual_add_f32 v34, v82, v23
	v_dual_sub_f32 v29, v30, v29 :: v_dual_add_f32 v38, v99, v30
	v_add_f32_e32 v76, v24, v89
	v_fma_f32 v24, -0.5, v100, v5
	v_sub_f32_e32 v103, v64, v36
	v_add_f32_e32 v73, v35, v37
	v_dual_add_f32 v67, v39, v67 :: v_dual_add_f32 v40, v28, v40
	v_fma_f32 v21, -0.5, v70, v8
	v_fma_f32 v8, -0.5, v77, v8
	v_add_f32_e32 v70, v78, v81
	v_fma_f32 v22, -0.5, v83, v9
	v_dual_fmac_f32 v9, -0.5, v88 :: v_dual_add_f32 v26, v26, v53
	v_add_f32_e32 v35, v90, v60
	v_fma_f32 v23, -0.5, v91, v4
	v_add_f32_e32 v60, v94, v95
	v_fma_f32 v4, -0.5, v96, v4
	v_fma_f32 v5, -0.5, v104, v5
	v_add_f32_e32 v81, v29, v105
	v_add_f32_e32 v39, v46, v47
	v_fmamk_f32 v27, v41, 0xbf737871, v19
	v_fmac_f32_e32 v19, 0x3f737871, v41
	v_dual_fmamk_f32 v29, v43, 0x3f737871, v10 :: v_dual_add_f32 v40, v40, v42
	v_fmac_f32_e32 v10, 0xbf737871, v43
	v_fmamk_f32 v30, v65, 0xbf737871, v11
	v_add_f32_e32 v46, v34, v32
	v_dual_add_f32 v53, v38, v36 :: v_dual_fmamk_f32 v38, v101, 0xbf737871, v5
	v_dual_fmamk_f32 v36, v59, 0x3f737871, v24 :: v_dual_fmac_f32 v11, 0x3f737871, v65
	s_delay_alu instid0(VALU_DEP_3) | instskip(NEXT) | instid1(VALU_DEP_3)
	v_dual_add_f32 v42, v46, v44 :: v_dual_fmamk_f32 v31, v71, 0xbf737871, v21
	v_dual_fmac_f32 v21, 0x3f737871, v71 :: v_dual_add_f32 v44, v53, v64
	v_fmamk_f32 v33, v72, 0x3f737871, v8
	v_fmamk_f32 v32, v84, 0x3f737871, v22
	v_dual_fmamk_f32 v34, v85, 0xbf737871, v9 :: v_dual_add_f32 v47, v35, v109
	v_dual_add_f32 v39, v39, v52 :: v_dual_fmac_f32 v10, 0x3f167918, v41
	v_fmac_f32_e32 v29, 0xbf167918, v41
	v_dual_fmac_f32 v30, 0x3f167918, v45 :: v_dual_add_f32 v41, v26, v58
	v_dual_fmac_f32 v36, 0x3f167918, v101 :: v_dual_add_f32 v53, v111, v62
	v_dual_add_f32 v26, v106, v79 :: v_dual_fmamk_f32 v37, v93, 0x3f737871, v4
	v_dual_fmac_f32 v4, 0xbf737871, v93 :: v_dual_add_f32 v75, v86, v87
	v_fma_f32 v25, -0.5, v107, v6
	v_fmamk_f32 v28, v45, 0x3f737871, v20
	v_fmac_f32_e32 v20, 0xbf737871, v45
	v_fmac_f32_e32 v22, 0xbf737871, v84
	v_dual_fmac_f32 v9, 0x3f737871, v85 :: v_dual_sub_f32 v52, v62, v80
	v_dual_fmamk_f32 v35, v92, 0xbf737871, v23 :: v_dual_fmac_f32 v24, 0xbf737871, v59
	v_dual_fmac_f32 v23, 0x3f737871, v92 :: v_dual_sub_f32 v46, v68, v61
	v_dual_fmac_f32 v27, 0xbf167918, v43 :: v_dual_fmac_f32 v20, 0xbf167918, v65
	v_dual_fmac_f32 v19, 0x3f167918, v43 :: v_dual_fmac_f32 v28, 0x3f167918, v65
	v_dual_fmac_f32 v32, 0x3f167918, v85 :: v_dual_add_f32 v43, v47, v74
	v_dual_fmac_f32 v4, 0x3f167918, v92 :: v_dual_sub_f32 v47, v111, v79
	v_add_f32_e32 v26, v26, v80
	v_fma_f32 v6, -0.5, v53, v6
	v_fmac_f32_e32 v5, 0x3f737871, v101
	s_delay_alu instid0(VALU_DEP_4) | instskip(NEXT) | instid1(VALU_DEP_4)
	v_dual_fmac_f32 v38, 0x3f167918, v59 :: v_dual_add_f32 v47, v47, v52
	v_add_f32_e32 v52, v26, v62
	s_delay_alu instid0(VALU_DEP_4) | instskip(SKIP_2) | instid1(VALU_DEP_2)
	v_dual_fmamk_f32 v58, v46, 0x3f737871, v6 :: v_dual_sub_f32 v53, v80, v62
	v_dual_sub_f32 v26, v79, v111 :: v_dual_fmac_f32 v11, 0xbf167918, v45
	v_dual_fmac_f32 v34, 0x3f167918, v84 :: v_dual_fmac_f32 v23, 0x3f167918, v93
	v_dual_fmac_f32 v58, 0xbf167918, v108 :: v_dual_add_f32 v53, v26, v53
	v_dual_fmac_f32 v37, 0xbf167918, v92 :: v_dual_sub_f32 v62, v111, v62
	v_dual_fmamk_f32 v45, v108, 0xbf737871, v25 :: v_dual_fmac_f32 v6, 0xbf737871, v46
	v_fmac_f32_e32 v5, 0xbf167918, v59
	v_fmac_f32_e32 v25, 0x3f737871, v108
	v_dual_add_f32 v59, v7, v66 :: v_dual_fmac_f32 v58, 0x3e9e377a, v53
	v_dual_fmac_f32 v35, 0xbf167918, v93 :: v_dual_add_f32 v78, v102, v103
	v_dual_fmac_f32 v33, 0xbf167918, v71 :: v_dual_fmac_f32 v24, 0xbf167918, v101
	v_fmac_f32_e32 v9, 0xbf167918, v84
	v_fmac_f32_e32 v23, 0x3e9e377a, v60
	v_dual_fmac_f32 v45, 0xbf167918, v46 :: v_dual_sub_f32 v64, v66, v68
	v_dual_fmac_f32 v25, 0x3f167918, v46 :: v_dual_fmac_f32 v6, 0x3f167918, v108
	v_add_f32_e32 v46, v59, v68
	v_dual_fmac_f32 v35, 0x3e9e377a, v60 :: v_dual_fmac_f32 v36, 0x3e9e377a, v78
	v_add_f32_e32 v60, v68, v61
	v_dual_fmac_f32 v38, 0x3e9e377a, v81 :: v_dual_fmac_f32 v45, 0x3e9e377a, v47
	v_fmac_f32_e32 v25, 0x3e9e377a, v47
	v_dual_add_f32 v77, v97, v98 :: v_dual_fmac_f32 v8, 0xbf737871, v72
	s_delay_alu instid0(VALU_DEP_4) | instskip(SKIP_3) | instid1(VALU_DEP_4)
	v_fma_f32 v26, -0.5, v60, v7
	v_dual_add_f32 v47, v46, v61 :: v_dual_sub_f32 v60, v79, v80
	v_fmac_f32_e32 v5, 0x3e9e377a, v81
	v_dual_fmac_f32 v31, 0xbf167918, v72 :: v_dual_fmac_f32 v22, 0xbf167918, v85
	v_fmamk_f32 v46, v62, 0x3f737871, v26
	v_dual_fmac_f32 v26, 0xbf737871, v62 :: v_dual_add_f32 v59, v66, v63
	v_dual_fmac_f32 v21, 0x3f167918, v72 :: v_dual_fmac_f32 v8, 0x3f167918, v71
	s_delay_alu instid0(VALU_DEP_3) | instskip(SKIP_1) | instid1(VALU_DEP_4)
	v_dual_fmac_f32 v46, 0x3f167918, v60 :: v_dual_sub_f32 v65, v63, v61
	v_dual_fmac_f32 v6, 0x3e9e377a, v53 :: v_dual_add_f32 v53, v47, v63
	v_dual_fmac_f32 v26, 0xbf167918, v60 :: v_dual_fmac_f32 v7, -0.5, v59
	s_delay_alu instid0(VALU_DEP_3)
	v_add_f32_e32 v47, v64, v65
	v_dual_sub_f32 v64, v68, v66 :: v_dual_sub_f32 v65, v15, v16
	v_sub_f32_e32 v61, v61, v63
	v_sub_f32_e32 v66, v18, v3
	v_add_f32_e32 v63, v2, v3
	v_dual_fmac_f32 v30, 0x3e9e377a, v67 :: v_dual_fmac_f32 v31, 0x3e9e377a, v69
	s_delay_alu instid0(VALU_DEP_4)
	v_add_f32_e32 v61, v64, v61
	v_add_f32_e32 v64, v0, v12
	v_fmamk_f32 v59, v60, 0xbf737871, v7
	v_dual_fmac_f32 v11, 0x3e9e377a, v67 :: v_dual_fmac_f32 v8, 0x3e9e377a, v70
	v_fmac_f32_e32 v7, 0x3f737871, v60
	v_fma_f32 v60, -0.5, v63, v0
	v_sub_f32_e32 v63, v14, v13
	v_add_f32_e32 v67, v12, v18
	v_fmac_f32_e32 v59, 0x3f167918, v62
	v_fmac_f32_e32 v7, 0xbf167918, v62
	v_sub_f32_e32 v68, v3, v18
	v_fmamk_f32 v62, v63, 0xbf737871, v60
	v_fmac_f32_e32 v46, 0x3e9e377a, v47
	v_fmac_f32_e32 v26, 0x3e9e377a, v47
	v_fma_f32 v0, -0.5, v67, v0
	v_add_f32_e32 v47, v64, v2
	v_dual_sub_f32 v64, v12, v2 :: v_dual_sub_f32 v67, v2, v12
	v_sub_f32_e32 v12, v12, v18
	v_sub_f32_e32 v2, v2, v3
	s_delay_alu instid0(VALU_DEP_3) | instskip(SKIP_2) | instid1(VALU_DEP_3)
	v_dual_add_f32 v47, v47, v3 :: v_dual_add_f32 v66, v64, v66
	v_dual_fmac_f32 v27, 0x3e9e377a, v110 :: v_dual_fmac_f32 v10, 0x3e9e377a, v112
	v_dual_fmac_f32 v19, 0x3e9e377a, v110 :: v_dual_fmac_f32 v28, 0x3e9e377a, v73
	v_add_f32_e32 v64, v47, v18
	v_fmac_f32_e32 v60, 0x3f737871, v63
	v_add_f32_e32 v18, v67, v68
	v_dual_fmac_f32 v29, 0x3e9e377a, v112 :: v_dual_fmac_f32 v20, 0x3e9e377a, v73
	v_dual_fmac_f32 v21, 0x3e9e377a, v69 :: v_dual_fmac_f32 v32, 0x3e9e377a, v75
	s_delay_alu instid0(VALU_DEP_4) | instskip(SKIP_2) | instid1(VALU_DEP_3)
	v_fmac_f32_e32 v60, 0x3f167918, v65
	v_dual_fmac_f32 v33, 0x3e9e377a, v70 :: v_dual_fmac_f32 v22, 0x3e9e377a, v75
	v_dual_fmac_f32 v34, 0x3e9e377a, v76 :: v_dual_fmac_f32 v37, 0x3e9e377a, v77
	v_fmac_f32_e32 v60, 0x3e9e377a, v66
	v_fmac_f32_e32 v62, 0xbf167918, v65
	;; [unrolled: 1-line block ×3, first 2 shown]
	v_dual_fmac_f32 v9, 0x3e9e377a, v76 :: v_dual_fmac_f32 v4, 0x3e9e377a, v77
	v_fmac_f32_e32 v24, 0x3e9e377a, v78
	s_delay_alu instid0(VALU_DEP_4) | instskip(SKIP_2) | instid1(VALU_DEP_2)
	v_fmac_f32_e32 v62, 0x3e9e377a, v66
	v_fmamk_f32 v66, v65, 0x3f737871, v0
	v_dual_fmac_f32 v0, 0xbf737871, v65 :: v_dual_add_f32 v47, v15, v16
	v_dual_add_f32 v65, v1, v14 :: v_dual_fmac_f32 v66, 0xbf167918, v63
	v_fmac_f32_e32 v7, 0x3e9e377a, v61
	s_delay_alu instid0(VALU_DEP_3) | instskip(NEXT) | instid1(VALU_DEP_4)
	v_fmac_f32_e32 v0, 0x3f167918, v63
	v_fma_f32 v61, -0.5, v47, v1
	s_delay_alu instid0(VALU_DEP_4) | instskip(SKIP_1) | instid1(VALU_DEP_4)
	v_add_f32_e32 v47, v65, v15
	v_dual_add_f32 v65, v14, v13 :: v_dual_fmac_f32 v66, 0x3e9e377a, v18
	v_fmac_f32_e32 v0, 0x3e9e377a, v18
	s_delay_alu instid0(VALU_DEP_4) | instskip(NEXT) | instid1(VALU_DEP_4)
	v_fmamk_f32 v63, v12, 0x3f737871, v61
	v_dual_add_f32 v3, v47, v16 :: v_dual_sub_f32 v18, v14, v15
	v_dual_sub_f32 v47, v13, v16 :: v_dual_sub_f32 v14, v15, v14
	v_fmac_f32_e32 v1, -0.5, v65
	v_fmac_f32_e32 v61, 0xbf737871, v12
	s_delay_alu instid0(VALU_DEP_3) | instskip(SKIP_1) | instid1(VALU_DEP_4)
	v_dual_sub_f32 v15, v16, v13 :: v_dual_add_f32 v16, v18, v47
	v_fmac_f32_e32 v63, 0x3f167918, v2
	v_fmamk_f32 v67, v2, 0xbf737871, v1
	v_fmac_f32_e32 v1, 0x3f737871, v2
	s_delay_alu instid0(VALU_DEP_4) | instskip(SKIP_1) | instid1(VALU_DEP_4)
	v_dual_fmac_f32 v61, 0xbf167918, v2 :: v_dual_add_f32 v2, v14, v15
	v_add_f32_e32 v65, v3, v13
	v_fmac_f32_e32 v67, 0x3f167918, v12
	s_delay_alu instid0(VALU_DEP_4) | instskip(SKIP_2) | instid1(VALU_DEP_4)
	v_fmac_f32_e32 v1, 0xbf167918, v12
	v_fmac_f32_e32 v63, 0x3e9e377a, v16
	;; [unrolled: 1-line block ×4, first 2 shown]
	s_delay_alu instid0(VALU_DEP_4)
	v_fmac_f32_e32 v1, 0x3e9e377a, v2
	ds_store_b64 v56, v[39:40]
	ds_store_b64 v56, v[27:28] offset:520
	ds_store_b64 v56, v[29:30] offset:1040
	;; [unrolled: 1-line block ×4, first 2 shown]
	ds_store_2addr_b64 v17, v[41:42], v[31:32] offset1:65
	ds_store_2addr_b64 v17, v[33:34], v[8:9] offset0:130 offset1:195
	ds_store_b64 v17, v[21:22] offset:2080
	ds_store_2addr_b64 v56, v[43:44], v[52:53] offset0:26 offset1:39
	ds_store_2addr_b64 v56, v[35:36], v[45:46] offset0:91 offset1:104
	;; [unrolled: 1-line block ×5, first 2 shown]
	ds_store_b64 v56, v[64:65] offset:416
	ds_store_b64 v56, v[62:63] offset:936
	;; [unrolled: 1-line block ×5, first 2 shown]
	global_wb scope:SCOPE_SE
	s_wait_dscnt 0x0
	s_barrier_signal -1
	s_barrier_wait -1
	global_inv scope:SCOPE_SE
	s_and_saveexec_b32 s0, vcc_lo
	s_cbranch_execz .LBB0_17
; %bb.16:
	v_mul_lo_u32 v2, s3, v50
	v_mul_lo_u32 v3, s2, v51
	v_mad_co_u64_u32 v[0:1], null, s2, v50, 0
	v_mad_co_u64_u32 v[4:5], null, s16, v54, 0
	v_lshl_add_u32 v25, v54, 3, v55
	v_add_nc_u32_e32 v16, 52, v54
	v_add_nc_u32_e32 v15, 26, v54
	v_add_nc_u32_e32 v18, 0x4e, v54
	v_add3_u32 v1, v1, v3, v2
	v_dual_mov_b32 v2, v5 :: v_dual_add_nc_u32 v17, 0x41, v54
	v_add_nc_u32_e32 v19, 0x82, v54
	v_add_nc_u32_e32 v23, 0x9c, v54
	s_delay_alu instid0(VALU_DEP_4)
	v_lshlrev_b64_e32 v[8:9], 3, v[0:1]
	v_add_nc_u32_e32 v21, 0x8f, v54
	v_mad_co_u64_u32 v[10:11], null, s17, v54, v[2:3]
	v_add_nc_u32_e32 v12, 13, v54
	ds_load_2addr_b64 v[0:3], v25 offset1:13
	v_add_co_u32 v13, vcc_lo, s6, v8
	s_wait_alu 0xfffd
	v_add_co_ci_u32_e32 v14, vcc_lo, s7, v9, vcc_lo
	v_mov_b32_e32 v5, v10
	v_mad_co_u64_u32 v[6:7], null, s16, v12, 0
	v_lshlrev_b64_e32 v[8:9], 3, v[48:49]
	s_delay_alu instid0(VALU_DEP_3) | instskip(NEXT) | instid1(VALU_DEP_2)
	v_lshlrev_b64_e32 v[4:5], 3, v[4:5]
	v_mad_co_u64_u32 v[10:11], null, s17, v12, v[7:8]
	v_add_co_u32 v26, vcc_lo, v13, v8
	v_mad_co_u64_u32 v[11:12], null, s16, v15, 0
	s_wait_alu 0xfffd
	v_add_co_ci_u32_e32 v27, vcc_lo, v14, v9, vcc_lo
	s_delay_alu instid0(VALU_DEP_4) | instskip(SKIP_1) | instid1(VALU_DEP_4)
	v_dual_mov_b32 v7, v10 :: v_dual_add_nc_u32 v14, 39, v54
	v_add_co_u32 v4, vcc_lo, v26, v4
	v_mov_b32_e32 v8, v12
	s_delay_alu instid0(VALU_DEP_3) | instskip(NEXT) | instid1(VALU_DEP_4)
	v_mad_co_u64_u32 v[9:10], null, s16, v14, 0
	v_lshlrev_b64_e32 v[6:7], 3, v[6:7]
	s_wait_alu 0xfffd
	v_add_co_ci_u32_e32 v5, vcc_lo, v27, v5, vcc_lo
	s_delay_alu instid0(VALU_DEP_3) | instskip(NEXT) | instid1(VALU_DEP_4)
	v_mad_co_u64_u32 v[12:13], null, s17, v15, v[8:9]
	v_mov_b32_e32 v8, v10
	s_delay_alu instid0(VALU_DEP_4) | instskip(SKIP_2) | instid1(VALU_DEP_3)
	v_add_co_u32 v6, vcc_lo, v26, v6
	s_wait_alu 0xfffd
	v_add_co_ci_u32_e32 v7, vcc_lo, v27, v7, vcc_lo
	v_mad_co_u64_u32 v[13:14], null, s17, v14, v[8:9]
	v_mad_co_u64_u32 v[14:15], null, s16, v16, 0
	s_wait_dscnt 0x0
	s_clause 0x1
	global_store_b64 v[4:5], v[0:1], off
	global_store_b64 v[6:7], v[2:3], off
	v_mad_co_u64_u32 v[7:8], null, s16, v17, 0
	ds_load_2addr_b64 v[0:3], v25 offset0:26 offset1:39
	v_lshlrev_b64_e32 v[4:5], 3, v[11:12]
	v_mov_b32_e32 v10, v13
	v_mov_b32_e32 v6, v15
	s_delay_alu instid0(VALU_DEP_3) | instskip(NEXT) | instid1(VALU_DEP_2)
	v_add_co_u32 v4, vcc_lo, v26, v4
	v_mad_co_u64_u32 v[11:12], null, s17, v16, v[6:7]
	v_mov_b32_e32 v6, v8
	s_wait_alu 0xfffd
	v_add_co_ci_u32_e32 v5, vcc_lo, v27, v5, vcc_lo
	s_delay_alu instid0(VALU_DEP_2) | instskip(SKIP_4) | instid1(VALU_DEP_3)
	v_mad_co_u64_u32 v[12:13], null, s17, v17, v[6:7]
	v_add_nc_u32_e32 v13, 0x5b, v54
	v_lshlrev_b64_e32 v[9:10], 3, v[9:10]
	v_mov_b32_e32 v15, v11
	v_mad_co_u64_u32 v[16:17], null, s16, v18, 0
	v_add_co_u32 v8, vcc_lo, v26, v9
	s_wait_alu 0xfffd
	s_delay_alu instid0(VALU_DEP_4)
	v_add_co_ci_u32_e32 v9, vcc_lo, v27, v10, vcc_lo
	s_wait_dscnt 0x0
	s_clause 0x1
	global_store_b64 v[4:5], v[0:1], off
	global_store_b64 v[8:9], v[2:3], off
	v_mov_b32_e32 v8, v12
	ds_load_2addr_b64 v[0:3], v25 offset0:52 offset1:65
	v_lshlrev_b64_e32 v[4:5], 3, v[14:15]
	v_mad_co_u64_u32 v[9:10], null, s16, v13, 0
	v_lshlrev_b64_e32 v[7:8], 3, v[7:8]
	v_dual_mov_b32 v6, v17 :: v_dual_add_nc_u32 v15, 0x68, v54
	s_delay_alu instid0(VALU_DEP_4) | instskip(SKIP_2) | instid1(VALU_DEP_3)
	v_add_co_u32 v4, vcc_lo, v26, v4
	s_wait_alu 0xfffd
	v_add_co_ci_u32_e32 v5, vcc_lo, v27, v5, vcc_lo
	v_mad_co_u64_u32 v[11:12], null, s17, v18, v[6:7]
	v_mov_b32_e32 v6, v10
	v_add_co_u32 v7, vcc_lo, v26, v7
	v_add_nc_u32_e32 v18, 0x75, v54
	s_wait_alu 0xfffd
	v_add_co_ci_u32_e32 v8, vcc_lo, v27, v8, vcc_lo
	s_delay_alu instid0(VALU_DEP_3)
	v_mad_co_u64_u32 v[12:13], null, s17, v13, v[6:7]
	v_mad_co_u64_u32 v[13:14], null, s16, v15, 0
	s_wait_dscnt 0x0
	s_clause 0x1
	global_store_b64 v[4:5], v[0:1], off
	global_store_b64 v[7:8], v[2:3], off
	v_mad_co_u64_u32 v[7:8], null, s16, v18, 0
	v_mov_b32_e32 v17, v11
	ds_load_2addr_b64 v[0:3], v25 offset0:78 offset1:91
	v_mov_b32_e32 v10, v12
	v_mov_b32_e32 v6, v14
	v_lshlrev_b64_e32 v[4:5], 3, v[16:17]
	s_delay_alu instid0(VALU_DEP_3) | instskip(NEXT) | instid1(VALU_DEP_3)
	v_lshlrev_b64_e32 v[9:10], 3, v[9:10]
	v_mad_co_u64_u32 v[11:12], null, s17, v15, v[6:7]
	v_mad_co_u64_u32 v[15:16], null, s16, v19, 0
	s_delay_alu instid0(VALU_DEP_4)
	v_add_co_u32 v4, vcc_lo, v26, v4
	s_wait_alu 0xfffd
	v_add_co_ci_u32_e32 v5, vcc_lo, v27, v5, vcc_lo
	v_mov_b32_e32 v6, v8
	v_add_co_u32 v8, vcc_lo, v26, v9
	v_mov_b32_e32 v14, v11
	s_wait_alu 0xfffd
	v_add_co_ci_u32_e32 v9, vcc_lo, v27, v10, vcc_lo
	v_mad_co_u64_u32 v[17:18], null, s17, v18, v[6:7]
	s_wait_dscnt 0x0
	s_clause 0x1
	global_store_b64 v[4:5], v[0:1], off
	global_store_b64 v[8:9], v[2:3], off
	v_lshlrev_b64_e32 v[5:6], 3, v[13:14]
	v_mov_b32_e32 v4, v16
	ds_load_2addr_b64 v[0:3], v25 offset0:104 offset1:117
	v_mov_b32_e32 v8, v17
	v_mad_co_u64_u32 v[9:10], null, s17, v19, v[4:5]
	v_mad_co_u64_u32 v[10:11], null, s16, v21, 0
	v_add_co_u32 v12, vcc_lo, v26, v5
	s_wait_alu 0xfffd
	v_add_co_ci_u32_e32 v13, vcc_lo, v27, v6, vcc_lo
	v_lshlrev_b64_e32 v[17:18], 3, v[7:8]
	ds_load_2addr_b64 v[4:7], v25 offset0:130 offset1:143
	v_mov_b32_e32 v8, v11
	v_mov_b32_e32 v16, v9
	v_mad_co_u64_u32 v[19:20], null, s16, v23, 0
	v_add_co_u32 v17, vcc_lo, v26, v17
	s_delay_alu instid0(VALU_DEP_4) | instskip(NEXT) | instid1(VALU_DEP_4)
	v_mad_co_u64_u32 v[8:9], null, s17, v21, v[8:9]
	v_lshlrev_b64_e32 v[14:15], 3, v[15:16]
	v_add_nc_u32_e32 v16, 0xa9, v54
	s_wait_alu 0xfffd
	v_add_co_ci_u32_e32 v18, vcc_lo, v27, v18, vcc_lo
	v_mov_b32_e32 v9, v20
	s_delay_alu instid0(VALU_DEP_3)
	v_mad_co_u64_u32 v[21:22], null, s16, v16, 0
	v_add_co_u32 v14, vcc_lo, v26, v14
	v_mov_b32_e32 v11, v8
	s_wait_alu 0xfffd
	v_add_co_ci_u32_e32 v15, vcc_lo, v27, v15, vcc_lo
	s_wait_dscnt 0x1
	s_clause 0x1
	global_store_b64 v[12:13], v[0:1], off
	global_store_b64 v[17:18], v[2:3], off
	s_wait_dscnt 0x0
	global_store_b64 v[14:15], v[4:5], off
	v_lshlrev_b64_e32 v[1:2], 3, v[10:11]
	v_mad_co_u64_u32 v[23:24], null, s17, v23, v[9:10]
	v_mov_b32_e32 v0, v22
	v_add_nc_u32_e32 v18, 0xb6, v54
	s_delay_alu instid0(VALU_DEP_4) | instskip(NEXT) | instid1(VALU_DEP_3)
	v_add_co_u32 v10, vcc_lo, v26, v1
	v_mad_co_u64_u32 v[4:5], null, s17, v16, v[0:1]
	s_delay_alu instid0(VALU_DEP_3) | instskip(SKIP_3) | instid1(VALU_DEP_4)
	v_mad_co_u64_u32 v[8:9], null, s16, v18, 0
	v_dual_mov_b32 v20, v23 :: v_dual_add_nc_u32 v23, 0xc3, v54
	s_wait_alu 0xfffd
	v_add_co_ci_u32_e32 v11, vcc_lo, v27, v2, vcc_lo
	v_mov_b32_e32 v22, v4
	ds_load_2addr_b64 v[0:3], v25 offset0:156 offset1:169
	v_mov_b32_e32 v4, v9
	v_mad_co_u64_u32 v[14:15], null, s16, v23, 0
	v_lshlrev_b64_e32 v[12:13], 3, v[19:20]
	v_lshlrev_b64_e32 v[16:17], 3, v[21:22]
	s_delay_alu instid0(VALU_DEP_4)
	v_mad_co_u64_u32 v[4:5], null, s17, v18, v[4:5]
	v_add_nc_u32_e32 v22, 0xd0, v54
	global_store_b64 v[10:11], v[6:7], off
	v_mov_b32_e32 v5, v15
	v_add_co_u32 v12, vcc_lo, v26, v12
	v_mad_co_u64_u32 v[18:19], null, s16, v22, 0
	s_delay_alu instid0(VALU_DEP_3)
	v_mad_co_u64_u32 v[20:21], null, s17, v23, v[5:6]
	v_mov_b32_e32 v9, v4
	s_wait_alu 0xfffd
	v_add_co_ci_u32_e32 v13, vcc_lo, v27, v13, vcc_lo
	v_add_co_u32 v15, vcc_lo, v26, v16
	s_wait_alu 0xfffd
	v_add_co_ci_u32_e32 v16, vcc_lo, v27, v17, vcc_lo
	v_lshlrev_b64_e32 v[5:6], 3, v[8:9]
	v_mov_b32_e32 v4, v19
	s_wait_dscnt 0x0
	s_clause 0x1
	global_store_b64 v[12:13], v[0:1], off
	global_store_b64 v[15:16], v[2:3], off
	v_dual_mov_b32 v15, v20 :: v_dual_add_nc_u32 v20, 0xdd, v54
	v_add_nc_u32_e32 v23, 0xf7, v54
	v_mad_co_u64_u32 v[7:8], null, s17, v22, v[4:5]
	s_delay_alu instid0(VALU_DEP_3)
	v_lshlrev_b64_e32 v[12:13], 3, v[14:15]
	v_add_nc_u32_e32 v22, 0xea, v54
	v_add_co_u32 v8, vcc_lo, v26, v5
	v_mad_co_u64_u32 v[10:11], null, s16, v20, 0
	ds_load_2addr_b64 v[0:3], v25 offset0:182 offset1:195
	s_wait_alu 0xfffd
	v_add_co_ci_u32_e32 v9, vcc_lo, v27, v6, vcc_lo
	v_mov_b32_e32 v19, v7
	v_mad_co_u64_u32 v[14:15], null, s16, v22, 0
	v_mad_co_u64_u32 v[16:17], null, s16, v23, 0
	v_add_co_u32 v12, vcc_lo, v26, v12
	ds_load_2addr_b64 v[4:7], v25 offset0:208 offset1:221
	v_lshlrev_b64_e32 v[18:19], 3, v[18:19]
	s_wait_alu 0xfffd
	v_add_co_ci_u32_e32 v13, vcc_lo, v27, v13, vcc_lo
	v_mad_co_u64_u32 v[20:21], null, s17, v20, v[11:12]
	v_mad_co_u64_u32 v[21:22], null, s17, v22, v[15:16]
	v_mov_b32_e32 v15, v17
	v_add_co_u32 v17, vcc_lo, v26, v18
	s_wait_alu 0xfffd
	v_add_co_ci_u32_e32 v18, vcc_lo, v27, v19, vcc_lo
	v_mov_b32_e32 v11, v20
	v_mad_co_u64_u32 v[19:20], null, s17, v23, v[15:16]
	s_wait_dscnt 0x1
	global_store_b64 v[8:9], v[0:1], off
	v_mov_b32_e32 v15, v21
	global_store_b64 v[12:13], v[2:3], off
	ds_load_2addr_b64 v[0:3], v25 offset0:234 offset1:247
	v_lshlrev_b64_e32 v[8:9], 3, v[10:11]
	s_wait_dscnt 0x1
	global_store_b64 v[17:18], v[4:5], off
	v_mov_b32_e32 v17, v19
	v_lshlrev_b64_e32 v[4:5], 3, v[14:15]
	v_add_nc_u32_e32 v20, 0x138, v54
	v_add_nc_u32_e32 v19, 0x800, v25
	v_add_co_u32 v8, vcc_lo, v26, v8
	v_lshlrev_b64_e32 v[10:11], 3, v[16:17]
	v_add_nc_u32_e32 v16, 0x104, v54
	v_add_nc_u32_e32 v17, 0x111, v54
	s_wait_alu 0xfffd
	v_add_co_ci_u32_e32 v9, vcc_lo, v27, v9, vcc_lo
	v_add_co_u32 v4, vcc_lo, v26, v4
	v_mad_co_u64_u32 v[12:13], null, s16, v16, 0
	v_mad_co_u64_u32 v[14:15], null, s16, v17, 0
	s_wait_alu 0xfffd
	v_add_co_ci_u32_e32 v5, vcc_lo, v27, v5, vcc_lo
	v_add_co_u32 v10, vcc_lo, v26, v10
	s_wait_alu 0xfffd
	v_add_co_ci_u32_e32 v11, vcc_lo, v27, v11, vcc_lo
	global_store_b64 v[8:9], v[6:7], off
	v_add_nc_u32_e32 v6, 0x11e, v54
	s_wait_dscnt 0x0
	s_clause 0x1
	global_store_b64 v[4:5], v[0:1], off
	global_store_b64 v[10:11], v[2:3], off
	v_dual_mov_b32 v0, v13 :: v_dual_mov_b32 v1, v15
	v_mad_co_u64_u32 v[8:9], null, s16, v6, 0
	s_delay_alu instid0(VALU_DEP_2) | instskip(SKIP_1) | instid1(VALU_DEP_3)
	v_mad_co_u64_u32 v[2:3], null, s17, v16, v[0:1]
	v_add_nc_u32_e32 v16, 0x12b, v54
	v_mov_b32_e32 v0, v9
	s_delay_alu instid0(VALU_DEP_2) | instskip(NEXT) | instid1(VALU_DEP_4)
	v_mad_co_u64_u32 v[10:11], null, s16, v16, 0
	v_mov_b32_e32 v13, v2
	v_mad_co_u64_u32 v[4:5], null, s17, v17, v[1:2]
	s_delay_alu instid0(VALU_DEP_4) | instskip(NEXT) | instid1(VALU_DEP_3)
	v_mad_co_u64_u32 v[5:6], null, s17, v6, v[0:1]
	v_lshlrev_b64_e32 v[6:7], 3, v[12:13]
	v_mad_co_u64_u32 v[12:13], null, s16, v20, 0
	ds_load_2addr_b64 v[0:3], v19 offset0:4 offset1:17
	v_dual_mov_b32 v15, v4 :: v_dual_mov_b32 v4, v11
	v_mov_b32_e32 v9, v5
	v_mov_b32_e32 v11, v13
	s_delay_alu instid0(VALU_DEP_3)
	v_mad_co_u64_u32 v[16:17], null, s17, v16, v[4:5]
	v_add_co_u32 v17, vcc_lo, v26, v6
	s_wait_alu 0xfffd
	v_add_co_ci_u32_e32 v18, vcc_lo, v27, v7, vcc_lo
	ds_load_2addr_b64 v[4:7], v19 offset0:30 offset1:43
	v_mad_co_u64_u32 v[19:20], null, s17, v20, v[11:12]
	v_lshlrev_b64_e32 v[13:14], 3, v[14:15]
	v_mov_b32_e32 v11, v16
	ds_load_b64 v[20:21], v25 offset:2496
	v_lshlrev_b64_e32 v[8:9], 3, v[8:9]
	v_add_co_u32 v15, vcc_lo, v26, v13
	v_mov_b32_e32 v13, v19
	v_lshlrev_b64_e32 v[10:11], 3, v[10:11]
	s_wait_alu 0xfffd
	v_add_co_ci_u32_e32 v16, vcc_lo, v27, v14, vcc_lo
	v_add_co_u32 v8, vcc_lo, v26, v8
	v_lshlrev_b64_e32 v[12:13], 3, v[12:13]
	s_wait_alu 0xfffd
	v_add_co_ci_u32_e32 v9, vcc_lo, v27, v9, vcc_lo
	v_add_co_u32 v10, vcc_lo, v26, v10
	s_wait_alu 0xfffd
	v_add_co_ci_u32_e32 v11, vcc_lo, v27, v11, vcc_lo
	v_add_co_u32 v12, vcc_lo, v26, v12
	s_wait_alu 0xfffd
	v_add_co_ci_u32_e32 v13, vcc_lo, v27, v13, vcc_lo
	s_wait_dscnt 0x2
	s_clause 0x1
	global_store_b64 v[17:18], v[0:1], off
	global_store_b64 v[15:16], v[2:3], off
	s_wait_dscnt 0x1
	s_clause 0x1
	global_store_b64 v[8:9], v[4:5], off
	global_store_b64 v[10:11], v[6:7], off
	s_wait_dscnt 0x0
	global_store_b64 v[12:13], v[20:21], off
.LBB0_17:
	s_nop 0
	s_sendmsg sendmsg(MSG_DEALLOC_VGPRS)
	s_endpgm
	.section	.rodata,"a",@progbits
	.p2align	6, 0x0
	.amdhsa_kernel fft_rtc_back_len325_factors_13_5_5_wgs_52_tpt_13_sp_op_CI_CI_sbrr_dirReg
		.amdhsa_group_segment_fixed_size 0
		.amdhsa_private_segment_fixed_size 0
		.amdhsa_kernarg_size 104
		.amdhsa_user_sgpr_count 2
		.amdhsa_user_sgpr_dispatch_ptr 0
		.amdhsa_user_sgpr_queue_ptr 0
		.amdhsa_user_sgpr_kernarg_segment_ptr 1
		.amdhsa_user_sgpr_dispatch_id 0
		.amdhsa_user_sgpr_private_segment_size 0
		.amdhsa_wavefront_size32 1
		.amdhsa_uses_dynamic_stack 0
		.amdhsa_enable_private_segment 0
		.amdhsa_system_sgpr_workgroup_id_x 1
		.amdhsa_system_sgpr_workgroup_id_y 0
		.amdhsa_system_sgpr_workgroup_id_z 0
		.amdhsa_system_sgpr_workgroup_info 0
		.amdhsa_system_vgpr_workitem_id 0
		.amdhsa_next_free_vgpr 118
		.amdhsa_next_free_sgpr 43
		.amdhsa_reserve_vcc 1
		.amdhsa_float_round_mode_32 0
		.amdhsa_float_round_mode_16_64 0
		.amdhsa_float_denorm_mode_32 3
		.amdhsa_float_denorm_mode_16_64 3
		.amdhsa_fp16_overflow 0
		.amdhsa_workgroup_processor_mode 1
		.amdhsa_memory_ordered 1
		.amdhsa_forward_progress 0
		.amdhsa_round_robin_scheduling 0
		.amdhsa_exception_fp_ieee_invalid_op 0
		.amdhsa_exception_fp_denorm_src 0
		.amdhsa_exception_fp_ieee_div_zero 0
		.amdhsa_exception_fp_ieee_overflow 0
		.amdhsa_exception_fp_ieee_underflow 0
		.amdhsa_exception_fp_ieee_inexact 0
		.amdhsa_exception_int_div_zero 0
	.end_amdhsa_kernel
	.text
.Lfunc_end0:
	.size	fft_rtc_back_len325_factors_13_5_5_wgs_52_tpt_13_sp_op_CI_CI_sbrr_dirReg, .Lfunc_end0-fft_rtc_back_len325_factors_13_5_5_wgs_52_tpt_13_sp_op_CI_CI_sbrr_dirReg
                                        ; -- End function
	.section	.AMDGPU.csdata,"",@progbits
; Kernel info:
; codeLenInByte = 16988
; NumSgprs: 45
; NumVgprs: 118
; ScratchSize: 0
; MemoryBound: 0
; FloatMode: 240
; IeeeMode: 1
; LDSByteSize: 0 bytes/workgroup (compile time only)
; SGPRBlocks: 5
; VGPRBlocks: 14
; NumSGPRsForWavesPerEU: 45
; NumVGPRsForWavesPerEU: 118
; Occupancy: 12
; WaveLimiterHint : 1
; COMPUTE_PGM_RSRC2:SCRATCH_EN: 0
; COMPUTE_PGM_RSRC2:USER_SGPR: 2
; COMPUTE_PGM_RSRC2:TRAP_HANDLER: 0
; COMPUTE_PGM_RSRC2:TGID_X_EN: 1
; COMPUTE_PGM_RSRC2:TGID_Y_EN: 0
; COMPUTE_PGM_RSRC2:TGID_Z_EN: 0
; COMPUTE_PGM_RSRC2:TIDIG_COMP_CNT: 0
	.text
	.p2alignl 7, 3214868480
	.fill 96, 4, 3214868480
	.type	__hip_cuid_3afc9608735d895,@object ; @__hip_cuid_3afc9608735d895
	.section	.bss,"aw",@nobits
	.globl	__hip_cuid_3afc9608735d895
__hip_cuid_3afc9608735d895:
	.byte	0                               ; 0x0
	.size	__hip_cuid_3afc9608735d895, 1

	.ident	"AMD clang version 19.0.0git (https://github.com/RadeonOpenCompute/llvm-project roc-6.4.0 25133 c7fe45cf4b819c5991fe208aaa96edf142730f1d)"
	.section	".note.GNU-stack","",@progbits
	.addrsig
	.addrsig_sym __hip_cuid_3afc9608735d895
	.amdgpu_metadata
---
amdhsa.kernels:
  - .args:
      - .actual_access:  read_only
        .address_space:  global
        .offset:         0
        .size:           8
        .value_kind:     global_buffer
      - .offset:         8
        .size:           8
        .value_kind:     by_value
      - .actual_access:  read_only
        .address_space:  global
        .offset:         16
        .size:           8
        .value_kind:     global_buffer
      - .actual_access:  read_only
        .address_space:  global
        .offset:         24
        .size:           8
        .value_kind:     global_buffer
      - .actual_access:  read_only
        .address_space:  global
        .offset:         32
        .size:           8
        .value_kind:     global_buffer
      - .offset:         40
        .size:           8
        .value_kind:     by_value
      - .actual_access:  read_only
        .address_space:  global
        .offset:         48
        .size:           8
        .value_kind:     global_buffer
      - .actual_access:  read_only
        .address_space:  global
        .offset:         56
        .size:           8
        .value_kind:     global_buffer
      - .offset:         64
        .size:           4
        .value_kind:     by_value
      - .actual_access:  read_only
        .address_space:  global
        .offset:         72
        .size:           8
        .value_kind:     global_buffer
      - .actual_access:  read_only
        .address_space:  global
        .offset:         80
        .size:           8
        .value_kind:     global_buffer
      - .actual_access:  read_only
        .address_space:  global
        .offset:         88
        .size:           8
        .value_kind:     global_buffer
      - .actual_access:  write_only
        .address_space:  global
        .offset:         96
        .size:           8
        .value_kind:     global_buffer
    .group_segment_fixed_size: 0
    .kernarg_segment_align: 8
    .kernarg_segment_size: 104
    .language:       OpenCL C
    .language_version:
      - 2
      - 0
    .max_flat_workgroup_size: 52
    .name:           fft_rtc_back_len325_factors_13_5_5_wgs_52_tpt_13_sp_op_CI_CI_sbrr_dirReg
    .private_segment_fixed_size: 0
    .sgpr_count:     45
    .sgpr_spill_count: 0
    .symbol:         fft_rtc_back_len325_factors_13_5_5_wgs_52_tpt_13_sp_op_CI_CI_sbrr_dirReg.kd
    .uniform_work_group_size: 1
    .uses_dynamic_stack: false
    .vgpr_count:     118
    .vgpr_spill_count: 0
    .wavefront_size: 32
    .workgroup_processor_mode: 1
amdhsa.target:   amdgcn-amd-amdhsa--gfx1201
amdhsa.version:
  - 1
  - 2
...

	.end_amdgpu_metadata
